;; amdgpu-corpus repo=ROCm/rocFFT kind=compiled arch=gfx906 opt=O3
	.text
	.amdgcn_target "amdgcn-amd-amdhsa--gfx906"
	.amdhsa_code_object_version 6
	.protected	fft_rtc_back_len2040_factors_17_4_3_10_wgs_170_tpt_170_halfLds_sp_op_CI_CI_unitstride_sbrr_R2C_dirReg ; -- Begin function fft_rtc_back_len2040_factors_17_4_3_10_wgs_170_tpt_170_halfLds_sp_op_CI_CI_unitstride_sbrr_R2C_dirReg
	.globl	fft_rtc_back_len2040_factors_17_4_3_10_wgs_170_tpt_170_halfLds_sp_op_CI_CI_unitstride_sbrr_R2C_dirReg
	.p2align	8
	.type	fft_rtc_back_len2040_factors_17_4_3_10_wgs_170_tpt_170_halfLds_sp_op_CI_CI_unitstride_sbrr_R2C_dirReg,@function
fft_rtc_back_len2040_factors_17_4_3_10_wgs_170_tpt_170_halfLds_sp_op_CI_CI_unitstride_sbrr_R2C_dirReg: ; @fft_rtc_back_len2040_factors_17_4_3_10_wgs_170_tpt_170_halfLds_sp_op_CI_CI_unitstride_sbrr_R2C_dirReg
; %bb.0:
	s_load_dwordx4 s[8:11], s[4:5], 0x58
	s_load_dwordx4 s[12:15], s[4:5], 0x0
	;; [unrolled: 1-line block ×3, first 2 shown]
	v_mul_u32_u24_e32 v1, 0x182, v0
	v_add_u32_sdwa v5, s6, v1 dst_sel:DWORD dst_unused:UNUSED_PAD src0_sel:DWORD src1_sel:WORD_1
	v_mov_b32_e32 v3, 0
	s_waitcnt lgkmcnt(0)
	v_cmp_lt_u64_e64 s[0:1], s[14:15], 2
	v_mov_b32_e32 v1, 0
	v_mov_b32_e32 v6, v3
	s_and_b64 vcc, exec, s[0:1]
	v_mov_b32_e32 v2, 0
	s_cbranch_vccnz .LBB0_8
; %bb.1:
	s_load_dwordx2 s[0:1], s[4:5], 0x10
	s_add_u32 s2, s18, 8
	s_addc_u32 s3, s19, 0
	s_add_u32 s6, s16, 8
	v_mov_b32_e32 v1, 0
	s_addc_u32 s7, s17, 0
	v_mov_b32_e32 v2, 0
	s_waitcnt lgkmcnt(0)
	s_add_u32 s20, s0, 8
	v_mov_b32_e32 v45, v2
	s_addc_u32 s21, s1, 0
	s_mov_b64 s[22:23], 1
	v_mov_b32_e32 v44, v1
.LBB0_2:                                ; =>This Inner Loop Header: Depth=1
	s_load_dwordx2 s[24:25], s[20:21], 0x0
                                        ; implicit-def: $vgpr48_vgpr49
	s_waitcnt lgkmcnt(0)
	v_or_b32_e32 v4, s25, v6
	v_cmp_ne_u64_e32 vcc, 0, v[3:4]
	s_and_saveexec_b64 s[0:1], vcc
	s_xor_b64 s[26:27], exec, s[0:1]
	s_cbranch_execz .LBB0_4
; %bb.3:                                ;   in Loop: Header=BB0_2 Depth=1
	v_cvt_f32_u32_e32 v4, s24
	v_cvt_f32_u32_e32 v7, s25
	s_sub_u32 s0, 0, s24
	s_subb_u32 s1, 0, s25
	v_mac_f32_e32 v4, 0x4f800000, v7
	v_rcp_f32_e32 v4, v4
	v_mul_f32_e32 v4, 0x5f7ffffc, v4
	v_mul_f32_e32 v7, 0x2f800000, v4
	v_trunc_f32_e32 v7, v7
	v_mac_f32_e32 v4, 0xcf800000, v7
	v_cvt_u32_f32_e32 v7, v7
	v_cvt_u32_f32_e32 v4, v4
	v_mul_lo_u32 v8, s0, v7
	v_mul_hi_u32 v9, s0, v4
	v_mul_lo_u32 v11, s1, v4
	v_mul_lo_u32 v10, s0, v4
	v_add_u32_e32 v8, v9, v8
	v_add_u32_e32 v8, v8, v11
	v_mul_hi_u32 v9, v4, v10
	v_mul_lo_u32 v11, v4, v8
	v_mul_hi_u32 v13, v4, v8
	v_mul_hi_u32 v12, v7, v10
	v_mul_lo_u32 v10, v7, v10
	v_mul_hi_u32 v14, v7, v8
	v_add_co_u32_e32 v9, vcc, v9, v11
	v_addc_co_u32_e32 v11, vcc, 0, v13, vcc
	v_mul_lo_u32 v8, v7, v8
	v_add_co_u32_e32 v9, vcc, v9, v10
	v_addc_co_u32_e32 v9, vcc, v11, v12, vcc
	v_addc_co_u32_e32 v10, vcc, 0, v14, vcc
	v_add_co_u32_e32 v8, vcc, v9, v8
	v_addc_co_u32_e32 v9, vcc, 0, v10, vcc
	v_add_co_u32_e32 v4, vcc, v4, v8
	v_addc_co_u32_e32 v7, vcc, v7, v9, vcc
	v_mul_lo_u32 v8, s0, v7
	v_mul_hi_u32 v9, s0, v4
	v_mul_lo_u32 v10, s1, v4
	v_mul_lo_u32 v11, s0, v4
	v_add_u32_e32 v8, v9, v8
	v_add_u32_e32 v8, v8, v10
	v_mul_lo_u32 v12, v4, v8
	v_mul_hi_u32 v13, v4, v11
	v_mul_hi_u32 v14, v4, v8
	v_mul_hi_u32 v10, v7, v11
	v_mul_lo_u32 v11, v7, v11
	v_mul_hi_u32 v9, v7, v8
	v_add_co_u32_e32 v12, vcc, v13, v12
	v_addc_co_u32_e32 v13, vcc, 0, v14, vcc
	v_mul_lo_u32 v8, v7, v8
	v_add_co_u32_e32 v11, vcc, v12, v11
	v_addc_co_u32_e32 v10, vcc, v13, v10, vcc
	v_addc_co_u32_e32 v9, vcc, 0, v9, vcc
	v_add_co_u32_e32 v8, vcc, v10, v8
	v_addc_co_u32_e32 v9, vcc, 0, v9, vcc
	v_add_co_u32_e32 v4, vcc, v4, v8
	v_addc_co_u32_e32 v9, vcc, v7, v9, vcc
	v_mad_u64_u32 v[7:8], s[0:1], v5, v9, 0
	v_mul_hi_u32 v10, v5, v4
	v_add_co_u32_e32 v11, vcc, v10, v7
	v_addc_co_u32_e32 v12, vcc, 0, v8, vcc
	v_mad_u64_u32 v[7:8], s[0:1], v6, v4, 0
	v_mad_u64_u32 v[9:10], s[0:1], v6, v9, 0
	v_add_co_u32_e32 v4, vcc, v11, v7
	v_addc_co_u32_e32 v4, vcc, v12, v8, vcc
	v_addc_co_u32_e32 v7, vcc, 0, v10, vcc
	v_add_co_u32_e32 v4, vcc, v4, v9
	v_addc_co_u32_e32 v9, vcc, 0, v7, vcc
	v_mul_lo_u32 v10, s25, v4
	v_mul_lo_u32 v11, s24, v9
	v_mad_u64_u32 v[7:8], s[0:1], s24, v4, 0
	v_add3_u32 v8, v8, v11, v10
	v_sub_u32_e32 v10, v6, v8
	v_mov_b32_e32 v11, s25
	v_sub_co_u32_e32 v7, vcc, v5, v7
	v_subb_co_u32_e64 v10, s[0:1], v10, v11, vcc
	v_subrev_co_u32_e64 v11, s[0:1], s24, v7
	v_subbrev_co_u32_e64 v10, s[0:1], 0, v10, s[0:1]
	v_cmp_le_u32_e64 s[0:1], s25, v10
	v_cndmask_b32_e64 v12, 0, -1, s[0:1]
	v_cmp_le_u32_e64 s[0:1], s24, v11
	v_cndmask_b32_e64 v11, 0, -1, s[0:1]
	v_cmp_eq_u32_e64 s[0:1], s25, v10
	v_cndmask_b32_e64 v10, v12, v11, s[0:1]
	v_add_co_u32_e64 v11, s[0:1], 2, v4
	v_addc_co_u32_e64 v12, s[0:1], 0, v9, s[0:1]
	v_add_co_u32_e64 v13, s[0:1], 1, v4
	v_addc_co_u32_e64 v14, s[0:1], 0, v9, s[0:1]
	v_subb_co_u32_e32 v8, vcc, v6, v8, vcc
	v_cmp_ne_u32_e64 s[0:1], 0, v10
	v_cmp_le_u32_e32 vcc, s25, v8
	v_cndmask_b32_e64 v10, v14, v12, s[0:1]
	v_cndmask_b32_e64 v12, 0, -1, vcc
	v_cmp_le_u32_e32 vcc, s24, v7
	v_cndmask_b32_e64 v7, 0, -1, vcc
	v_cmp_eq_u32_e32 vcc, s25, v8
	v_cndmask_b32_e32 v7, v12, v7, vcc
	v_cmp_ne_u32_e32 vcc, 0, v7
	v_cndmask_b32_e64 v7, v13, v11, s[0:1]
	v_cndmask_b32_e32 v49, v9, v10, vcc
	v_cndmask_b32_e32 v48, v4, v7, vcc
.LBB0_4:                                ;   in Loop: Header=BB0_2 Depth=1
	s_andn2_saveexec_b64 s[0:1], s[26:27]
	s_cbranch_execz .LBB0_6
; %bb.5:                                ;   in Loop: Header=BB0_2 Depth=1
	v_cvt_f32_u32_e32 v4, s24
	s_sub_i32 s26, 0, s24
	v_mov_b32_e32 v49, v3
	v_rcp_iflag_f32_e32 v4, v4
	v_mul_f32_e32 v4, 0x4f7ffffe, v4
	v_cvt_u32_f32_e32 v4, v4
	v_mul_lo_u32 v7, s26, v4
	v_mul_hi_u32 v7, v4, v7
	v_add_u32_e32 v4, v4, v7
	v_mul_hi_u32 v4, v5, v4
	v_mul_lo_u32 v7, v4, s24
	v_add_u32_e32 v8, 1, v4
	v_sub_u32_e32 v7, v5, v7
	v_subrev_u32_e32 v9, s24, v7
	v_cmp_le_u32_e32 vcc, s24, v7
	v_cndmask_b32_e32 v7, v7, v9, vcc
	v_cndmask_b32_e32 v4, v4, v8, vcc
	v_add_u32_e32 v8, 1, v4
	v_cmp_le_u32_e32 vcc, s24, v7
	v_cndmask_b32_e32 v48, v4, v8, vcc
.LBB0_6:                                ;   in Loop: Header=BB0_2 Depth=1
	s_or_b64 exec, exec, s[0:1]
	v_mul_lo_u32 v4, v49, s24
	v_mul_lo_u32 v9, v48, s25
	v_mad_u64_u32 v[7:8], s[0:1], v48, s24, 0
	s_load_dwordx2 s[0:1], s[6:7], 0x0
	s_load_dwordx2 s[24:25], s[2:3], 0x0
	v_add3_u32 v4, v8, v9, v4
	v_sub_co_u32_e32 v5, vcc, v5, v7
	v_subb_co_u32_e32 v4, vcc, v6, v4, vcc
	s_waitcnt lgkmcnt(0)
	v_mul_lo_u32 v6, s0, v4
	v_mul_lo_u32 v7, s1, v5
	v_mad_u64_u32 v[1:2], s[0:1], s0, v5, v[1:2]
	v_mul_lo_u32 v4, s24, v4
	v_mul_lo_u32 v8, s25, v5
	v_mad_u64_u32 v[44:45], s[0:1], s24, v5, v[44:45]
	s_add_u32 s22, s22, 1
	s_addc_u32 s23, s23, 0
	s_add_u32 s2, s2, 8
	v_add3_u32 v45, v8, v45, v4
	s_addc_u32 s3, s3, 0
	v_mov_b32_e32 v4, s14
	s_add_u32 s6, s6, 8
	v_mov_b32_e32 v5, s15
	s_addc_u32 s7, s7, 0
	v_cmp_ge_u64_e32 vcc, s[22:23], v[4:5]
	s_add_u32 s20, s20, 8
	v_add3_u32 v2, v7, v2, v6
	s_addc_u32 s21, s21, 0
	s_cbranch_vccnz .LBB0_9
; %bb.7:                                ;   in Loop: Header=BB0_2 Depth=1
	v_mov_b32_e32 v5, v48
	v_mov_b32_e32 v6, v49
	s_branch .LBB0_2
.LBB0_8:
	v_mov_b32_e32 v45, v2
	v_mov_b32_e32 v49, v6
	;; [unrolled: 1-line block ×4, first 2 shown]
.LBB0_9:
	s_load_dwordx2 s[4:5], s[4:5], 0x28
	s_lshl_b64 s[6:7], s[14:15], 3
	s_add_u32 s2, s18, s6
	s_addc_u32 s3, s19, s7
                                        ; implicit-def: $vgpr46
	s_waitcnt lgkmcnt(0)
	v_cmp_gt_u64_e64 s[0:1], s[4:5], v[48:49]
	v_cmp_le_u64_e32 vcc, s[4:5], v[48:49]
	s_and_saveexec_b64 s[4:5], vcc
	s_xor_b64 s[4:5], exec, s[4:5]
; %bb.10:
	s_mov_b32 s14, 0x1818182
	v_mul_hi_u32 v1, v0, s14
	v_mul_u32_u24_e32 v1, 0xaa, v1
	v_sub_u32_e32 v46, v0, v1
                                        ; implicit-def: $vgpr0
                                        ; implicit-def: $vgpr1_vgpr2
; %bb.11:
	s_andn2_saveexec_b64 s[4:5], s[4:5]
	s_cbranch_execz .LBB0_13
; %bb.12:
	s_add_u32 s6, s16, s6
	s_addc_u32 s7, s17, s7
	s_load_dwordx2 s[6:7], s[6:7], 0x0
	s_mov_b32 s14, 0x1818182
	v_mul_hi_u32 v5, v0, s14
	s_waitcnt lgkmcnt(0)
	v_mul_lo_u32 v6, s7, v48
	v_mul_lo_u32 v7, s6, v49
	v_mad_u64_u32 v[3:4], s[6:7], s6, v48, 0
	v_mul_u32_u24_e32 v5, 0xaa, v5
	v_sub_u32_e32 v46, v0, v5
	v_add3_u32 v4, v4, v7, v6
	v_lshlrev_b64 v[3:4], 3, v[3:4]
	v_mov_b32_e32 v0, s9
	v_add_co_u32_e32 v3, vcc, s8, v3
	v_addc_co_u32_e32 v4, vcc, v0, v4, vcc
	v_lshlrev_b64 v[0:1], 3, v[1:2]
	v_lshlrev_b32_e32 v28, 3, v46
	v_add_co_u32_e32 v0, vcc, v3, v0
	v_addc_co_u32_e32 v1, vcc, v4, v1, vcc
	v_add_co_u32_e32 v0, vcc, v0, v28
	v_addc_co_u32_e32 v1, vcc, 0, v1, vcc
	s_movk_i32 s6, 0x1000
	v_add_co_u32_e32 v10, vcc, s6, v0
	v_addc_co_u32_e32 v11, vcc, 0, v1, vcc
	s_movk_i32 s6, 0x2000
	v_add_co_u32_e32 v12, vcc, s6, v0
	v_addc_co_u32_e32 v13, vcc, 0, v1, vcc
	global_load_dwordx2 v[2:3], v[0:1], off offset:4080
	global_load_dwordx2 v[4:5], v[0:1], off
	global_load_dwordx2 v[6:7], v[0:1], off offset:2720
	global_load_dwordx2 v[8:9], v[0:1], off offset:1360
	v_add_co_u32_e32 v0, vcc, 0x3000, v0
	global_load_dwordx2 v[14:15], v[10:11], off offset:1344
	global_load_dwordx2 v[16:17], v[10:11], off offset:2704
	;; [unrolled: 1-line block ×4, first 2 shown]
	v_addc_co_u32_e32 v1, vcc, 0, v1, vcc
	global_load_dwordx2 v[10:11], v[12:13], off offset:2688
	global_load_dwordx2 v[22:23], v[12:13], off offset:4048
	;; [unrolled: 1-line block ×4, first 2 shown]
	v_add_u32_e32 v0, 0, v28
	v_add_u32_e32 v1, 0x800, v0
	;; [unrolled: 1-line block ×5, first 2 shown]
	s_waitcnt vmcnt(9)
	ds_write2_b64 v1, v[6:7], v[2:3] offset0:84 offset1:254
	s_waitcnt vmcnt(8)
	ds_write2_b64 v0, v[4:5], v[8:9] offset1:170
	s_waitcnt vmcnt(6)
	ds_write2_b64 v12, v[14:15], v[16:17] offset0:40 offset1:210
	s_waitcnt vmcnt(4)
	ds_write2_b64 v13, v[18:19], v[20:21] offset0:60 offset1:230
	;; [unrolled: 2-line block ×3, first 2 shown]
	v_add_u32_e32 v0, 0x3400, v0
	s_waitcnt vmcnt(0)
	ds_write2_b64 v0, v[24:25], v[26:27] offset0:36 offset1:206
.LBB0_13:
	s_or_b64 exec, exec, s[4:5]
	v_lshl_add_u32 v52, v46, 3, 0
	s_waitcnt lgkmcnt(0)
	s_barrier
	ds_read2_b64 v[12:15], v52 offset1:120
	ds_read_b64 v[2:3], v52 offset:15360
	v_add_u32_e32 v0, 0x400, v52
	v_add_u32_e32 v53, 0x3400, v52
	ds_read2_b64 v[16:19], v0 offset0:112 offset1:232
	ds_read2_b64 v[20:23], v53 offset0:16 offset1:136
	s_waitcnt lgkmcnt(2)
	v_sub_f32_e32 v74, v15, v3
	v_add_f32_e32 v55, v2, v14
	s_mov_b32 s6, 0x3f6eb680
	v_mul_f32_e32 v59, 0xbeb8f4ab, v74
	s_waitcnt lgkmcnt(0)
	v_sub_f32_e32 v80, v17, v23
	v_fma_f32 v0, v55, s6, -v59
	s_mov_b32 s7, 0x3f3d2fb0
	v_add_f32_e32 v56, v22, v16
	v_mul_f32_e32 v61, 0xbf2c7751, v80
	v_add_f32_e32 v85, v3, v15
	v_add_f32_e32 v0, v12, v0
	v_fma_f32 v1, v56, s7, -v61
	v_mul_f32_e32 v64, 0x3f6eb680, v85
	v_add_f32_e32 v86, v23, v17
	v_add_f32_e32 v0, v1, v0
	v_sub_f32_e32 v57, v14, v2
	v_mov_b32_e32 v1, v64
	v_mul_f32_e32 v65, 0x3f3d2fb0, v86
	v_fmac_f32_e32 v1, 0xbeb8f4ab, v57
	v_sub_f32_e32 v58, v16, v22
	v_mov_b32_e32 v4, v65
	v_sub_f32_e32 v88, v19, v21
	v_add_f32_e32 v1, v13, v1
	v_fmac_f32_e32 v4, 0xbf2c7751, v58
	s_mov_b32 s8, 0x3ee437d1
	v_add_f32_e32 v60, v20, v18
	v_mul_f32_e32 v66, 0xbf65296c, v88
	v_add_f32_e32 v1, v4, v1
	v_fma_f32 v4, v60, s8, -v66
	v_add_f32_e32 v0, v4, v0
	v_add_u32_e32 v4, 0x2c00, v52
	v_add_u32_e32 v47, 0xc00, v52
	ds_read2_b64 v[24:27], v4 offset0:32 offset1:152
	ds_read2_b64 v[28:31], v47 offset0:96 offset1:216
	v_add_f32_e32 v90, v21, v19
	v_mul_f32_e32 v69, 0x3ee437d1, v90
	v_sub_f32_e32 v62, v18, v20
	v_mov_b32_e32 v4, v69
	s_waitcnt lgkmcnt(0)
	v_sub_f32_e32 v91, v29, v27
	v_fmac_f32_e32 v4, 0xbf65296c, v62
	s_mov_b32 s9, 0x3dbcf732
	v_add_f32_e32 v63, v26, v28
	v_mul_f32_e32 v71, 0xbf7ee86f, v91
	v_add_f32_e32 v94, v27, v29
	v_add_f32_e32 v1, v4, v1
	v_fma_f32 v4, v63, s9, -v71
	v_mul_f32_e32 v73, 0x3dbcf732, v94
	v_add_f32_e32 v0, v4, v0
	v_sub_f32_e32 v67, v28, v26
	v_mov_b32_e32 v4, v73
	v_sub_f32_e32 v95, v31, v25
	v_fmac_f32_e32 v4, 0xbf7ee86f, v67
	s_mov_b32 s14, 0xbe8c1d8e
	v_add_f32_e32 v68, v24, v30
	v_mul_f32_e32 v75, 0xbf763a35, v95
	v_add_f32_e32 v1, v4, v1
	v_fma_f32 v4, v68, s14, -v75
	v_add_f32_e32 v0, v4, v0
	v_add_u32_e32 v4, 0x2400, v52
	v_add_u32_e32 v54, 0x1400, v52
	ds_read2_b64 v[32:35], v4 offset0:48 offset1:168
	ds_read2_b64 v[36:39], v54 offset0:80 offset1:200
	v_add_f32_e32 v100, v25, v31
	v_mul_f32_e32 v78, 0xbe8c1d8e, v100
	v_sub_f32_e32 v70, v30, v24
	v_mov_b32_e32 v4, v78
	s_waitcnt lgkmcnt(0)
	v_sub_f32_e32 v106, v37, v35
	v_fmac_f32_e32 v4, 0xbf763a35, v70
	s_mov_b32 s15, 0xbf1a4643
	v_add_f32_e32 v72, v34, v36
	v_mul_f32_e32 v81, 0xbf4c4adb, v106
	v_add_f32_e32 v114, v35, v37
	v_add_f32_e32 v1, v4, v1
	v_fma_f32 v4, v72, s15, -v81
	v_mul_f32_e32 v82, 0xbf1a4643, v114
	v_add_f32_e32 v0, v4, v0
	v_sub_f32_e32 v76, v36, v34
	v_mov_b32_e32 v4, v82
	v_sub_f32_e32 v115, v39, v33
	v_fmac_f32_e32 v4, 0xbf4c4adb, v76
	s_mov_b32 s16, 0xbf59a7d5
	v_add_f32_e32 v77, v32, v38
	v_mul_f32_e32 v87, 0xbf06c442, v115
	v_add_f32_e32 v1, v4, v1
	v_fma_f32 v4, v77, s16, -v87
	v_add_f32_e32 v0, v4, v0
	v_add_u32_e32 v4, 0x1c00, v52
	ds_read2_b64 v[40:43], v4 offset0:64 offset1:184
	v_add_f32_e32 v124, v33, v39
	v_mul_f32_e32 v89, 0xbf59a7d5, v124
	v_sub_f32_e32 v79, v38, v32
	v_mov_b32_e32 v4, v89
	s_waitcnt lgkmcnt(0)
	v_add_f32_e32 v132, v43, v41
	v_fmac_f32_e32 v4, 0xbf06c442, v79
	v_mul_f32_e32 v93, 0xbf7ba420, v132
	v_add_f32_e32 v1, v4, v1
	v_sub_f32_e32 v84, v40, v42
	v_mov_b32_e32 v4, v93
	v_sub_f32_e32 v125, v41, v43
	s_mov_b32 s17, 0xbf7ba420
	v_fmac_f32_e32 v4, 0xbe3c28d5, v84
	v_add_f32_e32 v83, v42, v40
	v_mul_f32_e32 v92, 0xbe3c28d5, v125
	v_mul_f32_e32 v96, 0xbf2c7751, v74
	v_fma_f32 v5, v83, s17, -v92
	v_add_f32_e32 v1, v4, v1
	v_fma_f32 v4, v55, s7, -v96
	v_mul_f32_e32 v97, 0xbf7ee86f, v80
	v_add_f32_e32 v0, v5, v0
	v_add_f32_e32 v4, v12, v4
	v_fma_f32 v5, v56, s9, -v97
	v_mul_f32_e32 v102, 0x3f3d2fb0, v85
	v_add_f32_e32 v4, v5, v4
	v_mov_b32_e32 v5, v102
	v_mul_f32_e32 v103, 0x3dbcf732, v86
	v_fmac_f32_e32 v5, 0xbf2c7751, v57
	v_mov_b32_e32 v6, v103
	v_add_f32_e32 v5, v13, v5
	v_fmac_f32_e32 v6, 0xbf7ee86f, v58
	v_mul_f32_e32 v98, 0xbf4c4adb, v88
	v_add_f32_e32 v5, v6, v5
	v_fma_f32 v6, v60, s15, -v98
	v_mul_f32_e32 v105, 0xbf1a4643, v90
	v_add_f32_e32 v4, v6, v4
	v_mov_b32_e32 v6, v105
	v_fmac_f32_e32 v6, 0xbf4c4adb, v62
	v_mul_f32_e32 v99, 0xbe3c28d5, v91
	v_add_f32_e32 v5, v6, v5
	v_fma_f32 v6, v63, s17, -v99
	v_mul_f32_e32 v108, 0xbf7ba420, v94
	v_add_f32_e32 v4, v6, v4
	v_mov_b32_e32 v6, v108
	;; [unrolled: 7-line block ×5, first 2 shown]
	v_fmac_f32_e32 v6, 0x3f65296c, v79
	v_mul_f32_e32 v113, 0x3f6eb680, v132
	v_mul_f32_e32 v110, 0x3eb8f4ab, v125
	v_add_f32_e32 v5, v6, v5
	v_mov_b32_e32 v7, v113
	v_fma_f32 v6, v83, s6, -v110
	v_mul_f32_e32 v116, 0xbf65296c, v74
	v_fmac_f32_e32 v7, 0x3eb8f4ab, v84
	v_add_f32_e32 v6, v6, v4
	v_fma_f32 v4, v55, s8, -v116
	v_mul_f32_e32 v117, 0xbf4c4adb, v80
	v_add_f32_e32 v7, v7, v5
	v_add_f32_e32 v4, v12, v4
	v_fma_f32 v5, v56, s15, -v117
	v_mul_f32_e32 v118, 0x3e3c28d5, v88
	v_add_f32_e32 v4, v5, v4
	v_fma_f32 v5, v60, s17, -v118
	v_mul_f32_e32 v119, 0x3f763a35, v91
	;; [unrolled: 3-line block ×7, first 2 shown]
	v_add_f32_e32 v4, v5, v4
	v_mov_b32_e32 v5, v126
	v_mul_f32_e32 v127, 0xbf1a4643, v86
	v_fmac_f32_e32 v5, 0xbf65296c, v57
	v_mov_b32_e32 v8, v127
	v_add_f32_e32 v5, v13, v5
	v_fmac_f32_e32 v8, 0xbf4c4adb, v58
	v_mul_f32_e32 v128, 0xbf7ba420, v90
	v_add_f32_e32 v5, v8, v5
	v_mov_b32_e32 v8, v128
	v_fmac_f32_e32 v8, 0x3e3c28d5, v62
	v_mul_f32_e32 v129, 0xbe8c1d8e, v94
	v_add_f32_e32 v5, v8, v5
	v_mov_b32_e32 v8, v129
	;; [unrolled: 4-line block ×6, first 2 shown]
	v_fmac_f32_e32 v8, 0xbf06c442, v84
	v_mul_f32_e32 v135, 0xbf7ee86f, v74
	v_add_f32_e32 v5, v8, v5
	v_fma_f32 v8, v55, s9, -v135
	v_mul_f32_e32 v136, 0xbe3c28d5, v80
	v_add_f32_e32 v8, v12, v8
	v_fma_f32 v9, v56, s17, -v136
	v_mul_f32_e32 v140, 0x3dbcf732, v85
	v_add_f32_e32 v8, v9, v8
	v_mov_b32_e32 v9, v140
	v_mul_f32_e32 v141, 0xbf7ba420, v86
	v_fmac_f32_e32 v9, 0xbf7ee86f, v57
	v_mov_b32_e32 v10, v141
	v_add_f32_e32 v9, v13, v9
	v_fmac_f32_e32 v10, 0xbe3c28d5, v58
	v_mul_f32_e32 v137, 0x3f763a35, v88
	v_add_f32_e32 v9, v10, v9
	v_fma_f32 v10, v60, s14, -v137
	v_mul_f32_e32 v143, 0xbe8c1d8e, v90
	v_add_f32_e32 v8, v10, v8
	v_mov_b32_e32 v10, v143
	v_fmac_f32_e32 v10, 0x3f763a35, v62
	v_mul_f32_e32 v138, 0x3eb8f4ab, v91
	v_add_f32_e32 v9, v10, v9
	v_fma_f32 v10, v63, s6, -v138
	v_mul_f32_e32 v146, 0x3f6eb680, v94
	v_add_f32_e32 v8, v10, v8
	v_mov_b32_e32 v10, v146
	;; [unrolled: 7-line block ×5, first 2 shown]
	v_fmac_f32_e32 v10, 0x3f4c4adb, v79
	v_mul_f32_e32 v154, 0x3f3d2fb0, v132
	v_mul_f32_e32 v149, 0x3f2c7751, v125
	v_add_f32_e32 v9, v10, v9
	v_mov_b32_e32 v11, v154
	v_fma_f32 v10, v83, s7, -v149
	v_mul_f32_e32 v159, 0xbf763a35, v74
	v_fmac_f32_e32 v11, 0x3f2c7751, v84
	v_add_f32_e32 v10, v10, v8
	v_fma_f32 v8, v55, s14, -v159
	v_mul_f32_e32 v160, 0x3f06c442, v80
	v_add_f32_e32 v11, v11, v9
	v_add_f32_e32 v8, v12, v8
	v_fma_f32 v9, v56, s16, -v160
	v_mul_f32_e32 v161, 0x3f2c7751, v88
	v_add_f32_e32 v8, v9, v8
	v_fma_f32 v9, v60, s7, -v161
	v_mul_f32_e32 v162, 0xbf65296c, v91
	;; [unrolled: 3-line block ×7, first 2 shown]
	v_add_f32_e32 v8, v9, v8
	v_mov_b32_e32 v9, v167
	v_mul_f32_e32 v170, 0xbf59a7d5, v86
	v_fmac_f32_e32 v9, 0xbf763a35, v57
	v_mov_b32_e32 v50, v170
	v_add_f32_e32 v9, v13, v9
	v_fmac_f32_e32 v50, 0x3f06c442, v58
	v_mul_f32_e32 v168, 0x3f3d2fb0, v90
	v_add_f32_e32 v9, v50, v9
	v_mov_b32_e32 v50, v168
	v_fmac_f32_e32 v50, 0x3f2c7751, v62
	v_mul_f32_e32 v169, 0x3ee437d1, v94
	v_add_f32_e32 v9, v50, v9
	v_mov_b32_e32 v50, v169
	;; [unrolled: 4-line block ×6, first 2 shown]
	v_fmac_f32_e32 v50, 0xbf4c4adb, v84
	s_movk_i32 s4, 0x78
	v_add_f32_e32 v9, v50, v9
	v_cmp_gt_u32_e32 vcc, s4, v46
	s_barrier
	s_and_saveexec_b64 s[4:5], vcc
	s_cbranch_execz .LBB0_15
; %bb.14:
	v_mul_f32_e32 v179, 0xbf06c442, v57
	v_mov_b32_e32 v50, v179
	v_mul_f32_e32 v180, 0x3f65296c, v58
	v_fmac_f32_e32 v50, 0xbf59a7d5, v85
	v_mov_b32_e32 v51, v180
	v_add_f32_e32 v50, v13, v50
	v_fmac_f32_e32 v51, 0x3ee437d1, v86
	v_mul_f32_e32 v219, 0xbf7ee86f, v62
	v_add_f32_e32 v50, v51, v50
	v_mov_b32_e32 v51, v219
	v_fmac_f32_e32 v51, 0x3dbcf732, v90
	v_mul_f32_e32 v220, 0x3f4c4adb, v67
	v_add_f32_e32 v50, v51, v50
	v_mov_b32_e32 v51, v220
	;; [unrolled: 4-line block ×6, first 2 shown]
	v_fmac_f32_e32 v51, 0xbe8c1d8e, v132
	v_mul_f32_e32 v225, 0xbf06c442, v74
	v_add_f32_e32 v51, v51, v50
	v_fma_f32 v50, v55, s16, -v225
	v_mul_f32_e32 v226, 0x3f65296c, v80
	v_add_f32_e32 v50, v12, v50
	v_fma_f32 v175, v56, s8, -v226
	;; [unrolled: 3-line block ×8, first 2 shown]
	v_mul_f32_e32 v177, 0xbe3c28d5, v57
	v_add_f32_e32 v50, v175, v50
	v_mov_b32_e32 v175, v177
	v_mul_f32_e32 v178, 0x3eb8f4ab, v58
	v_fmac_f32_e32 v175, 0xbf7ba420, v85
	v_mov_b32_e32 v176, v178
	v_add_f32_e32 v175, v13, v175
	v_fmac_f32_e32 v176, 0x3f6eb680, v86
	v_mul_f32_e32 v233, 0xbf06c442, v62
	v_add_f32_e32 v175, v176, v175
	v_mov_b32_e32 v176, v233
	v_fma_f32 v179, v85, s16, -v179
	v_fmac_f32_e32 v176, 0xbf59a7d5, v90
	v_mul_f32_e32 v234, 0x3f2c7751, v67
	v_add_f32_e32 v179, v13, v179
	v_fma_f32 v180, v86, s8, -v180
	v_add_f32_e32 v175, v176, v175
	v_mov_b32_e32 v176, v234
	v_add_f32_e32 v179, v180, v179
	v_fma_f32 v180, v90, s9, -v219
	v_fmac_f32_e32 v176, 0x3f3d2fb0, v94
	v_mul_f32_e32 v235, 0xbf4c4adb, v70
	v_add_f32_e32 v179, v180, v179
	v_fma_f32 v180, v94, s15, -v220
	v_add_f32_e32 v175, v176, v175
	v_mov_b32_e32 v176, v235
	v_add_f32_e32 v179, v180, v179
	;; [unrolled: 8-line block ×3, first 2 shown]
	v_fma_f32 v180, v124, s7, -v223
	v_fmac_f32_e32 v225, 0xbf59a7d5, v55
	v_fmac_f32_e32 v176, 0x3ee437d1, v114
	v_mul_f32_e32 v237, 0xbf763a35, v79
	v_add_f32_e32 v179, v180, v179
	v_add_f32_e32 v180, v12, v225
	v_fmac_f32_e32 v226, 0x3ee437d1, v56
	v_add_f32_e32 v175, v176, v175
	v_mov_b32_e32 v176, v237
	v_add_f32_e32 v180, v226, v180
	v_fmac_f32_e32 v227, 0x3dbcf732, v60
	v_fmac_f32_e32 v176, 0xbe8c1d8e, v124
	v_mul_f32_e32 v238, 0x3f7ee86f, v84
	v_add_f32_e32 v180, v227, v180
	v_fmac_f32_e32 v228, 0xbf1a4643, v63
	v_add_f32_e32 v175, v176, v175
	v_mov_b32_e32 v176, v238
	v_add_f32_e32 v180, v228, v180
	v_fmac_f32_e32 v229, 0x3f6eb680, v68
	v_fmac_f32_e32 v176, 0x3dbcf732, v132
	v_mul_f32_e32 v239, 0xbe3c28d5, v74
	v_fma_f32 v177, v85, s17, -v177
	v_add_f32_e32 v228, v229, v180
	v_fma_f32 v180, v132, s14, -v224
	v_fmac_f32_e32 v230, 0xbf7ba420, v72
	v_mul_f32_e32 v224, 0xbf1a4643, v85
	v_add_f32_e32 v176, v176, v175
	v_fma_f32 v175, v55, s17, -v239
	v_mul_f32_e32 v240, 0x3eb8f4ab, v80
	v_add_f32_e32 v177, v13, v177
	v_fma_f32 v178, v86, s6, -v178
	v_add_f32_e32 v180, v180, v179
	v_add_f32_e32 v179, v230, v228
	v_mov_b32_e32 v85, v224
	v_mul_f32_e32 v228, 0xbe8c1d8e, v86
	v_add_f32_e32 v175, v12, v175
	v_fma_f32 v241, v56, s6, -v240
	v_add_f32_e32 v177, v178, v177
	v_fma_f32 v178, v90, s16, -v233
	v_fmac_f32_e32 v85, 0x3f4c4adb, v57
	v_mov_b32_e32 v86, v228
	v_add_f32_e32 v175, v241, v175
	v_mul_f32_e32 v241, 0xbf06c442, v88
	v_add_f32_e32 v177, v178, v177
	v_fma_f32 v178, v94, s7, -v234
	v_add_f32_e32 v85, v13, v85
	v_fmac_f32_e32 v86, 0xbf763a35, v58
	v_mul_f32_e32 v230, 0x3f6eb680, v90
	v_fma_f32 v242, v60, s16, -v241
	v_add_f32_e32 v177, v178, v177
	v_fma_f32 v178, v100, s15, -v235
	v_fmac_f32_e32 v231, 0x3f3d2fb0, v77
	v_add_f32_e32 v85, v86, v85
	v_mov_b32_e32 v86, v230
	v_add_f32_e32 v175, v242, v175
	v_mul_f32_e32 v242, 0x3f2c7751, v91
	v_add_f32_e32 v177, v178, v177
	v_fma_f32 v178, v114, s8, -v236
	v_add_f32_e32 v179, v231, v179
	v_fmac_f32_e32 v86, 0x3eb8f4ab, v62
	v_mul_f32_e32 v231, 0xbf59a7d5, v94
	v_fma_f32 v243, v63, s7, -v242
	v_add_f32_e32 v177, v178, v177
	v_fma_f32 v178, v124, s14, -v237
	v_fmac_f32_e32 v239, 0xbf7ba420, v55
	v_fmac_f32_e32 v232, 0xbe8c1d8e, v83
	v_add_f32_e32 v85, v86, v85
	v_mov_b32_e32 v86, v231
	v_add_f32_e32 v175, v243, v175
	v_mul_f32_e32 v243, 0xbf4c4adb, v95
	v_add_f32_e32 v177, v178, v177
	v_add_f32_e32 v178, v12, v239
	v_fmac_f32_e32 v240, 0x3f6eb680, v56
	v_add_f32_e32 v179, v232, v179
	v_fmac_f32_e32 v86, 0x3f06c442, v67
	v_mul_f32_e32 v232, 0x3dbcf732, v100
	v_fma_f32 v244, v68, s15, -v243
	v_add_f32_e32 v178, v240, v178
	v_fmac_f32_e32 v241, 0xbf59a7d5, v60
	v_add_f32_e32 v85, v86, v85
	v_mov_b32_e32 v86, v232
	v_add_f32_e32 v175, v244, v175
	v_mul_f32_e32 v244, 0x3f65296c, v106
	v_add_f32_e32 v178, v241, v178
	v_fmac_f32_e32 v242, 0x3f3d2fb0, v63
	v_fmac_f32_e32 v86, 0xbf7ee86f, v70
	v_mul_f32_e32 v250, 0x3f3d2fb0, v114
	v_fma_f32 v245, v72, s8, -v244
	v_add_f32_e32 v178, v242, v178
	v_fmac_f32_e32 v243, 0xbf1a4643, v68
	v_add_f32_e32 v85, v86, v85
	v_mov_b32_e32 v86, v250
	v_add_f32_e32 v175, v245, v175
	v_mul_f32_e32 v245, 0xbf763a35, v115
	v_add_f32_e32 v178, v243, v178
	v_fmac_f32_e32 v244, 0x3ee437d1, v72
	v_fmac_f32_e32 v86, 0x3f2c7751, v76
	v_mul_f32_e32 v124, 0xbf7ba420, v124
	v_fma_f32 v246, v77, s14, -v245
	v_add_f32_e32 v178, v244, v178
	v_fmac_f32_e32 v245, 0xbe8c1d8e, v77
	v_add_f32_e32 v85, v86, v85
	v_mov_b32_e32 v86, v124
	v_add_f32_e32 v244, v245, v178
	v_fma_f32 v178, v132, s9, -v238
	v_fmac_f32_e32 v86, 0x3e3c28d5, v79
	v_mul_f32_e32 v132, 0x3ee437d1, v132
	v_add_f32_e32 v85, v86, v85
	v_mov_b32_e32 v86, v132
	v_fmac_f32_e32 v86, 0xbf65296c, v84
	v_mul_f32_e32 v74, 0xbf4c4adb, v74
	v_add_f32_e32 v86, v86, v85
	v_mov_b32_e32 v85, v74
	v_mul_f32_e32 v80, 0x3f763a35, v80
	v_fmac_f32_e32 v85, 0xbf1a4643, v55
	v_mov_b32_e32 v90, v80
	v_add_f32_e32 v85, v12, v85
	v_fmac_f32_e32 v90, 0xbe8c1d8e, v56
	v_mul_f32_e32 v88, 0xbeb8f4ab, v88
	v_add_f32_e32 v85, v90, v85
	v_mov_b32_e32 v90, v88
	v_fmac_f32_e32 v90, 0x3f6eb680, v60
	v_mul_f32_e32 v251, 0xbf06c442, v91
	v_add_f32_e32 v85, v90, v85
	v_mov_b32_e32 v90, v251
	;; [unrolled: 4-line block ×3, first 2 shown]
	v_fmac_f32_e32 v90, 0x3dbcf732, v68
	v_mul_f32_e32 v106, 0xbf2c7751, v106
	v_add_f32_e32 v14, v12, v14
	v_add_f32_e32 v85, v90, v85
	v_mov_b32_e32 v90, v106
	v_add_f32_e32 v14, v14, v16
	v_fmac_f32_e32 v90, 0x3f3d2fb0, v72
	v_mul_f32_e32 v253, 0xbe3c28d5, v115
	v_add_f32_e32 v14, v14, v18
	v_add_f32_e32 v85, v90, v85
	v_mov_b32_e32 v90, v253
	v_add_f32_e32 v14, v14, v28
	v_add_f32_e32 v175, v246, v175
	v_mul_f32_e32 v246, 0x3f7ee86f, v125
	v_fmac_f32_e32 v90, 0xbf7ba420, v77
	v_mul_f32_e32 v125, 0x3f65296c, v125
	v_add_f32_e32 v14, v14, v30
	v_add_f32_e32 v85, v90, v85
	v_mov_b32_e32 v90, v125
	v_add_f32_e32 v14, v14, v36
	v_mul_f32_e32 v188, 0xbf763a35, v57
	v_fmac_f32_e32 v90, 0x3ee437d1, v83
	v_add_f32_e32 v14, v14, v38
	v_mul_f32_e32 v196, 0x3f06c442, v58
	v_add_f32_e32 v85, v90, v85
	v_sub_f32_e32 v90, v167, v188
	v_add_f32_e32 v14, v14, v40
	v_mul_f32_e32 v204, 0x3f2c7751, v62
	v_sub_f32_e32 v91, v170, v196
	v_add_f32_e32 v90, v13, v90
	v_add_f32_e32 v15, v13, v15
	;; [unrolled: 1-line block ×3, first 2 shown]
	v_mul_f32_e32 v213, 0xbf65296c, v67
	v_add_f32_e32 v90, v91, v90
	v_sub_f32_e32 v91, v168, v204
	v_add_f32_e32 v15, v15, v17
	v_add_f32_e32 v14, v14, v32
	v_mul_f32_e32 v233, 0xbe3c28d5, v70
	v_add_f32_e32 v90, v91, v90
	v_sub_f32_e32 v91, v169, v213
	v_add_f32_e32 v15, v15, v19
	v_add_f32_e32 v14, v14, v34
	;; [unrolled: 5-line block ×5, first 2 shown]
	v_mul_f32_e32 v145, 0x3f6eb680, v55
	v_mul_f32_e32 v152, 0xbeb8f4ab, v57
	v_mul_f32_e32 v181, 0x3f3d2fb0, v55
	v_mul_f32_e32 v183, 0x3ee437d1, v55
	v_mul_f32_e32 v185, 0x3dbcf732, v55
	v_mul_f32_e32 v187, 0xbe8c1d8e, v55
	v_add_f32_e32 v90, v91, v90
	v_sub_f32_e32 v91, v174, v168
	v_add_f32_e32 v15, v15, v39
	v_add_f32_e32 v14, v14, v22
	v_mul_f32_e32 v182, 0xbf2c7751, v57
	v_mul_f32_e32 v184, 0xbf65296c, v57
	;; [unrolled: 1-line block ×5, first 2 shown]
	v_add_f32_e32 v91, v91, v90
	v_add_f32_e32 v90, v187, v159
	;; [unrolled: 1-line block ×5, first 2 shown]
	v_sub_f32_e32 v64, v64, v152
	v_add_f32_e32 v59, v145, v59
	v_add_f32_e32 v15, v15, v41
	;; [unrolled: 1-line block ×3, first 2 shown]
	v_fma_f32 v14, v55, s15, -v74
	v_mul_f32_e32 v189, 0x3dbcf732, v56
	v_mul_f32_e32 v190, 0xbf7ee86f, v58
	;; [unrolled: 1-line block ×9, first 2 shown]
	v_add_f32_e32 v90, v12, v90
	v_sub_f32_e32 v140, v140, v186
	v_add_f32_e32 v135, v12, v135
	v_sub_f32_e32 v126, v126, v184
	;; [unrolled: 2-line block ×3, first 2 shown]
	v_add_f32_e32 v96, v12, v96
	v_add_f32_e32 v64, v13, v64
	v_sub_f32_e32 v65, v65, v156
	v_add_f32_e32 v59, v12, v59
	v_add_f32_e32 v61, v147, v61
	;; [unrolled: 1-line block ×3, first 2 shown]
	v_fmac_f32_e32 v224, 0xbf4c4adb, v57
	v_add_f32_e32 v12, v12, v14
	v_fma_f32 v14, v56, s14, -v80
	v_mul_f32_e32 v197, 0xbf1a4643, v60
	v_mul_f32_e32 v198, 0xbf4c4adb, v62
	;; [unrolled: 1-line block ×9, first 2 shown]
	v_add_f32_e32 v159, v195, v160
	v_add_f32_e32 v140, v13, v140
	v_sub_f32_e32 v141, v141, v194
	v_add_f32_e32 v136, v193, v136
	v_add_f32_e32 v126, v13, v126
	v_sub_f32_e32 v127, v127, v192
	;; [unrolled: 3-line block ×4, first 2 shown]
	v_add_f32_e32 v59, v61, v59
	v_add_f32_e32 v61, v151, v66
	;; [unrolled: 1-line block ×4, first 2 shown]
	v_fmac_f32_e32 v228, 0x3f763a35, v58
	v_add_f32_e32 v12, v14, v12
	v_fma_f32 v14, v60, s6, -v88
	v_mul_f32_e32 v206, 0xbf7ba420, v63
	v_mul_f32_e32 v207, 0xbe3c28d5, v67
	;; [unrolled: 1-line block ×9, first 2 shown]
	v_fma_f32 v247, v83, s9, -v246
	v_add_f32_e32 v90, v159, v90
	v_add_f32_e32 v159, v203, v161
	v_add_f32_e32 v140, v141, v140
	v_sub_f32_e32 v141, v143, v202
	v_add_f32_e32 v135, v136, v135
	v_add_f32_e32 v136, v201, v137
	v_add_f32_e32 v126, v127, v126
	v_sub_f32_e32 v127, v128, v200
	;; [unrolled: 4-line block ×4, first 2 shown]
	v_add_f32_e32 v59, v61, v59
	v_add_f32_e32 v61, v155, v71
	;; [unrolled: 1-line block ×4, first 2 shown]
	v_fmac_f32_e32 v230, 0xbeb8f4ab, v62
	v_add_f32_e32 v12, v14, v12
	v_fma_f32 v14, v63, s16, -v251
	v_mul_f32_e32 v215, 0xbf59a7d5, v68
	v_mul_f32_e32 v216, 0x3f06c442, v70
	;; [unrolled: 1-line block ×4, first 2 shown]
	v_add_f32_e32 v175, v247, v175
	v_mul_f32_e32 v247, 0x3ee437d1, v68
	v_mul_f32_e32 v248, 0xbf65296c, v70
	v_mul_f32_e32 v249, 0xbf7ba420, v68
	v_mul_f32_e32 v234, 0xbf1a4643, v72
	v_mul_f32_e32 v235, 0xbf4c4adb, v76
	v_fmac_f32_e32 v246, 0x3dbcf732, v83
	v_add_f32_e32 v90, v159, v90
	v_add_f32_e32 v159, v212, v162
	v_add_f32_e32 v140, v141, v140
	v_sub_f32_e32 v141, v146, v211
	v_add_f32_e32 v135, v136, v135
	v_add_f32_e32 v136, v210, v138
	v_add_f32_e32 v126, v127, v126
	v_sub_f32_e32 v127, v129, v209
	;; [unrolled: 4-line block ×4, first 2 shown]
	v_add_f32_e32 v59, v61, v59
	v_add_f32_e32 v61, v157, v75
	;; [unrolled: 1-line block ×4, first 2 shown]
	v_fmac_f32_e32 v231, 0xbf06c442, v67
	v_add_f32_e32 v12, v14, v12
	v_fma_f32 v14, v68, s9, -v252
	v_mul_f32_e32 v236, 0xbe8c1d8e, v72
	v_mul_f32_e32 v237, 0x3f763a35, v76
	;; [unrolled: 1-line block ×7, first 2 shown]
	v_add_f32_e32 v178, v178, v177
	v_add_f32_e32 v177, v246, v244
	v_mul_f32_e32 v238, 0xbf59a7d5, v77
	v_mul_f32_e32 v244, 0xbf06c442, v79
	v_add_f32_e32 v90, v159, v90
	v_add_f32_e32 v159, v249, v163
	v_add_f32_e32 v140, v141, v140
	v_sub_f32_e32 v141, v148, v248
	v_add_f32_e32 v135, v136, v135
	v_add_f32_e32 v136, v247, v139
	v_add_f32_e32 v126, v127, v126
	v_sub_f32_e32 v127, v130, v218
	;; [unrolled: 4-line block ×4, first 2 shown]
	v_add_f32_e32 v59, v61, v59
	v_add_f32_e32 v61, v234, v81
	;; [unrolled: 1-line block ×4, first 2 shown]
	v_fmac_f32_e32 v232, 0x3f7ee86f, v70
	v_add_f32_e32 v12, v14, v12
	v_fma_f32 v14, v72, s7, -v106
	v_mul_f32_e32 v246, 0x3ee437d1, v77
	v_mul_f32_e32 v219, 0x3f65296c, v79
	;; [unrolled: 1-line block ×9, first 2 shown]
	v_add_f32_e32 v90, v159, v90
	v_add_f32_e32 v159, v243, v164
	v_add_f32_e32 v140, v141, v140
	v_sub_f32_e32 v141, v150, v242
	v_add_f32_e32 v135, v136, v135
	v_add_f32_e32 v136, v241, v142
	v_add_f32_e32 v126, v127, v126
	v_sub_f32_e32 v127, v131, v240
	;; [unrolled: 4-line block ×4, first 2 shown]
	v_add_f32_e32 v59, v61, v59
	v_add_f32_e32 v61, v238, v87
	;; [unrolled: 1-line block ×4, first 2 shown]
	v_fmac_f32_e32 v250, 0xbf2c7751, v76
	v_add_f32_e32 v12, v14, v12
	v_fma_f32 v14, v77, s17, -v253
	v_mul_f32_e32 v254, 0x3f6eb680, v83
	v_mul_f32_e32 v100, 0x3eb8f4ab, v84
	;; [unrolled: 1-line block ×7, first 2 shown]
	v_add_f32_e32 v90, v159, v90
	v_add_f32_e32 v159, v225, v165
	v_add_f32_e32 v140, v141, v140
	v_sub_f32_e32 v141, v153, v223
	v_add_f32_e32 v135, v136, v135
	v_add_f32_e32 v136, v222, v144
	v_add_f32_e32 v126, v127, v126
	v_sub_f32_e32 v127, v133, v221
	v_add_f32_e32 v116, v117, v116
	v_add_f32_e32 v117, v220, v122
	v_add_f32_e32 v102, v103, v102
	v_sub_f32_e32 v103, v112, v219
	v_add_f32_e32 v96, v97, v96
	v_add_f32_e32 v97, v246, v107
	v_add_f32_e32 v64, v65, v64
	v_sub_f32_e32 v65, v93, v229
	v_add_f32_e32 v59, v61, v59
	v_add_f32_e32 v61, v227, v92
	;; [unrolled: 1-line block ×4, first 2 shown]
	v_fmac_f32_e32 v124, 0xbe3c28d5, v79
	v_add_f32_e32 v12, v14, v12
	v_fma_f32 v14, v83, s8, -v125
	v_add_f32_e32 v90, v159, v90
	v_add_f32_e32 v159, v167, v166
	v_add_f32_e32 v140, v141, v140
	v_sub_f32_e32 v95, v154, v95
	v_add_f32_e32 v135, v136, v135
	v_add_f32_e32 v94, v94, v149
	v_add_f32_e32 v126, v127, v126
	v_sub_f32_e32 v115, v134, v115
	;; [unrolled: 4-line block ×3, first 2 shown]
	v_add_f32_e32 v96, v97, v96
	v_add_f32_e32 v97, v254, v110
	;; [unrolled: 1-line block ×6, first 2 shown]
	v_fmac_f32_e32 v132, 0x3f65296c, v84
	v_add_f32_e32 v12, v14, v12
	v_lshl_add_u32 v14, v46, 7, v52
	v_add_f32_e32 v90, v159, v90
	v_add_f32_e32 v95, v95, v140
	;; [unrolled: 1-line block ×8, first 2 shown]
	ds_write2_b64 v14, v[2:3], v[64:65] offset1:1
	ds_write2_b64 v14, v[99:100], v[114:115] offset0:2 offset1:3
	ds_write2_b64 v14, v[94:95], v[90:91] offset0:4 offset1:5
	;; [unrolled: 1-line block ×7, first 2 shown]
	ds_write_b64 v14, v[0:1] offset:128
.LBB0_15:
	s_or_b64 exec, exec, s[4:5]
	s_movk_i32 s4, 0xf1
	v_mul_lo_u16_sdwa v2, v46, s4 dst_sel:DWORD dst_unused:UNUSED_PAD src0_sel:BYTE_0 src1_sel:DWORD
	v_lshrrev_b16_e32 v43, 12, v2
	v_mul_lo_u16_e32 v2, 17, v43
	v_add_u32_e32 v40, 0xaa, v46
	v_sub_u16_e32 v65, v46, v2
	v_mov_b32_e32 v66, 3
	s_mov_b32 s4, 0xf0f1
	v_mul_u32_u24_sdwa v2, v65, v66 dst_sel:DWORD dst_unused:UNUSED_PAD src0_sel:BYTE_0 src1_sel:DWORD
	v_mul_u32_u24_sdwa v67, v40, s4 dst_sel:DWORD dst_unused:UNUSED_PAD src0_sel:WORD_0 src1_sel:DWORD
	v_lshlrev_b32_e32 v2, 3, v2
	v_lshrrev_b32_e32 v68, 20, v67
	s_load_dwordx2 s[2:3], s[2:3], 0x0
	s_waitcnt lgkmcnt(0)
	s_barrier
	global_load_dwordx2 v[41:42], v2, s[12:13] offset:16
	global_load_dwordx4 v[12:15], v2, s[12:13]
	v_mul_lo_u16_e32 v2, 17, v68
	v_add_u32_e32 v3, 0x154, v46
	v_sub_u16_e32 v69, v40, v2
	v_mul_u32_u24_e32 v2, 3, v69
	v_mul_u32_u24_sdwa v70, v3, s4 dst_sel:DWORD dst_unused:UNUSED_PAD src0_sel:WORD_0 src1_sel:DWORD
	v_lshlrev_b32_e32 v2, 3, v2
	v_lshrrev_b32_e32 v71, 20, v70
	global_load_dwordx2 v[50:51], v2, s[12:13] offset:16
	global_load_dwordx4 v[16:19], v2, s[12:13]
	v_mul_lo_u16_e32 v2, 17, v71
	v_sub_u16_e32 v72, v3, v2
	v_mul_u32_u24_e32 v2, 3, v72
	v_lshlrev_b32_e32 v2, 3, v2
	global_load_dwordx4 v[20:23], v2, s[12:13]
	global_load_dwordx2 v[63:64], v2, s[12:13] offset:16
	v_add_u32_e32 v73, 0x800, v52
	ds_read2_b64 v[24:27], v52 offset1:170
	v_add_u32_e32 v2, 0x1e00, v52
	v_add_u32_e32 v74, 0x2800, v52
	ds_read2_b64 v[28:31], v73 offset0:84 offset1:254
	ds_read2_b64 v[32:35], v54 offset0:40 offset1:210
	;; [unrolled: 1-line block ×5, first 2 shown]
	s_waitcnt vmcnt(0) lgkmcnt(0)
	s_barrier
	s_movk_i32 s5, 0x79
	v_cmp_gt_u32_e32 vcc, 34, v46
	v_mul_f32_e32 v77, v42, v62
	v_mul_f32_e32 v76, v15, v37
	;; [unrolled: 1-line block ×6, first 2 shown]
	v_fmac_f32_e32 v76, v14, v36
	v_fmac_f32_e32 v75, v12, v30
	v_mul_f32_e32 v80, v56, v51
	v_mul_f32_e32 v78, v17, v33
	;; [unrolled: 1-line block ×6, first 2 shown]
	v_fma_f32 v12, v12, v31, -v13
	v_fma_f32 v13, v14, v37, -v15
	v_fmac_f32_e32 v77, v41, v61
	v_fma_f32 v14, v41, v62, -v42
	v_fmac_f32_e32 v78, v16, v32
	;; [unrolled: 2-line block ×3, first 2 shown]
	v_fma_f32 v32, v56, v50, -v51
	v_sub_f32_e32 v16, v24, v76
	v_mul_f32_e32 v81, v35, v21
	v_mul_f32_e32 v21, v34, v21
	;; [unrolled: 1-line block ×6, first 2 shown]
	v_fma_f32 v31, v18, v39, -v19
	v_fmac_f32_e32 v80, v55, v50
	v_sub_f32_e32 v17, v25, v13
	v_sub_f32_e32 v13, v75, v77
	;; [unrolled: 1-line block ×3, first 2 shown]
	v_fma_f32 v18, v24, 2.0, -v16
	v_sub_f32_e32 v36, v26, v79
	v_sub_f32_e32 v24, v30, v32
	v_fmac_f32_e32 v81, v34, v20
	v_fma_f32 v33, v35, v20, -v21
	v_fmac_f32_e32 v82, v59, v22
	v_fma_f32 v34, v60, v22, -v23
	;; [unrolled: 2-line block ×3, first 2 shown]
	v_fma_f32 v19, v25, 2.0, -v17
	v_fma_f32 v15, v75, 2.0, -v13
	;; [unrolled: 1-line block ×3, first 2 shown]
	v_sub_f32_e32 v31, v27, v31
	v_sub_f32_e32 v25, v78, v80
	v_fma_f32 v21, v30, 2.0, -v24
	v_add_f32_e32 v24, v36, v24
	v_add_f32_e32 v12, v16, v14
	v_sub_f32_e32 v14, v18, v15
	v_sub_f32_e32 v15, v19, v20
	v_fma_f32 v22, v26, 2.0, -v36
	v_fma_f32 v20, v78, 2.0, -v25
	v_sub_f32_e32 v25, v31, v25
	v_fma_f32 v26, v36, 2.0, -v24
	v_sub_f32_e32 v36, v28, v82
	v_sub_f32_e32 v37, v29, v34
	;; [unrolled: 1-line block ×4, first 2 shown]
	v_fma_f32 v23, v27, 2.0, -v31
	v_fma_f32 v27, v31, 2.0, -v25
	;; [unrolled: 1-line block ×4, first 2 shown]
	v_add_f32_e32 v32, v36, v32
	v_sub_f32_e32 v33, v37, v34
	v_sub_f32_e32 v13, v17, v13
	v_fma_f32 v30, v28, 2.0, -v36
	v_fma_f32 v28, v81, 2.0, -v34
	;; [unrolled: 1-line block ×4, first 2 shown]
	v_mul_u32_u24_e32 v36, 0x220, v43
	v_lshlrev_b32_sdwa v37, v66, v65 dst_sel:DWORD dst_unused:UNUSED_PAD src0_sel:DWORD src1_sel:BYTE_0
	v_fma_f32 v16, v16, 2.0, -v12
	v_fma_f32 v18, v18, 2.0, -v14
	;; [unrolled: 1-line block ×4, first 2 shown]
	v_add3_u32 v36, 0, v36, v37
	v_sub_f32_e32 v20, v22, v20
	v_sub_f32_e32 v21, v23, v21
	ds_write2_b64 v36, v[18:19], v[16:17] offset1:17
	ds_write2_b64 v36, v[14:15], v[12:13] offset0:34 offset1:51
	v_mul_u32_u24_e32 v12, 0x220, v68
	v_lshlrev_b32_e32 v13, 3, v69
	v_fma_f32 v22, v22, 2.0, -v20
	v_fma_f32 v23, v23, 2.0, -v21
	v_add3_u32 v12, 0, v12, v13
	v_sub_f32_e32 v28, v30, v28
	v_sub_f32_e32 v29, v31, v29
	ds_write2_b64 v12, v[22:23], v[26:27] offset1:17
	ds_write2_b64 v12, v[20:21], v[24:25] offset0:34 offset1:51
	v_mul_u32_u24_e32 v12, 0x220, v71
	v_lshlrev_b32_e32 v13, 3, v72
	v_fma_f32 v30, v30, 2.0, -v28
	v_fma_f32 v31, v31, 2.0, -v29
	v_add3_u32 v12, 0, v12, v13
	ds_write2_b64 v12, v[30:31], v[34:35] offset1:17
	ds_write2_b64 v12, v[28:29], v[32:33] offset0:34 offset1:51
	v_mul_lo_u16_sdwa v12, v46, s5 dst_sel:DWORD dst_unused:UNUSED_PAD src0_sel:BYTE_0 src1_sel:DWORD
	v_lshrrev_b16_e32 v41, 13, v12
	v_mul_lo_u16_e32 v12, 0x44, v41
	v_sub_u16_e32 v42, v46, v12
	v_mov_b32_e32 v12, 4
	v_lshlrev_b32_sdwa v12, v12, v42 dst_sel:DWORD dst_unused:UNUSED_PAD src0_sel:DWORD src1_sel:BYTE_0
	v_lshrrev_b32_e32 v43, 22, v67
	s_waitcnt lgkmcnt(0)
	s_barrier
	global_load_dwordx4 v[16:19], v12, s[12:13] offset:408
	v_mul_lo_u16_e32 v12, 0x44, v43
	v_sub_u16_e32 v50, v40, v12
	v_lshlrev_b32_e32 v12, 4, v50
	v_lshrrev_b32_e32 v51, 22, v70
	global_load_dwordx4 v[20:23], v12, s[12:13] offset:408
	v_mul_lo_u16_e32 v12, 0x44, v51
	v_sub_u16_e32 v3, v3, v12
	v_lshlrev_b32_e32 v12, 4, v3
	global_load_dwordx4 v[24:27], v12, s[12:13] offset:408
	v_add_u32_e32 v12, 0x1fe, v46
	v_mul_u32_u24_sdwa v13, v12, s4 dst_sel:DWORD dst_unused:UNUSED_PAD src0_sel:WORD_0 src1_sel:DWORD
	v_lshrrev_b32_e32 v67, 22, v13
	v_mul_lo_u16_e32 v13, 0x44, v67
	v_sub_u16_e32 v68, v12, v13
	v_lshlrev_b32_e32 v12, 4, v68
	global_load_dwordx4 v[28:31], v12, s[12:13] offset:408
	ds_read2_b64 v[32:35], v52 offset1:170
	ds_read2_b64 v[36:39], v54 offset0:40 offset1:210
	ds_read2_b64 v[54:57], v74 offset0:80 offset1:250
	;; [unrolled: 1-line block ×5, first 2 shown]
	s_waitcnt vmcnt(0) lgkmcnt(0)
	s_barrier
	v_lshlrev_b32_e32 v3, 3, v3
	v_mul_f32_e32 v53, v17, v37
	v_mul_f32_e32 v17, v17, v36
	v_fmac_f32_e32 v53, v16, v36
	v_fma_f32 v36, v16, v37, -v17
	v_mul_f32_e32 v37, v19, v55
	v_fmac_f32_e32 v37, v18, v54
	v_mul_f32_e32 v16, v19, v54
	v_add_f32_e32 v17, v53, v37
	v_fma_f32 v19, v18, v55, -v16
	v_mul_f32_e32 v54, v21, v39
	v_mul_f32_e32 v16, v21, v38
	v_fma_f32 v18, -0.5, v17, v32
	v_fmac_f32_e32 v54, v20, v38
	v_fma_f32 v38, v20, v39, -v16
	v_sub_f32_e32 v17, v36, v19
	v_mov_b32_e32 v20, v18
	v_fmac_f32_e32 v20, 0xbf5db3d7, v17
	v_fmac_f32_e32 v18, 0x3f5db3d7, v17
	v_add_f32_e32 v17, v33, v36
	v_mul_f32_e32 v39, v23, v57
	v_add_f32_e32 v17, v17, v19
	v_add_f32_e32 v19, v36, v19
	v_fmac_f32_e32 v39, v22, v56
	v_mul_f32_e32 v16, v23, v56
	v_fma_f32 v19, -0.5, v19, v33
	v_fma_f32 v55, v22, v57, -v16
	v_mul_f32_e32 v56, v25, v59
	v_sub_f32_e32 v22, v53, v37
	v_mov_b32_e32 v21, v19
	v_add_f32_e32 v23, v54, v39
	v_fmac_f32_e32 v56, v24, v58
	v_mul_f32_e32 v16, v25, v58
	v_mul_f32_e32 v58, v63, v27
	v_fmac_f32_e32 v21, 0x3f5db3d7, v22
	v_fmac_f32_e32 v19, 0xbf5db3d7, v22
	v_add_f32_e32 v22, v34, v54
	v_fma_f32 v34, -0.5, v23, v34
	v_fma_f32 v57, v24, v59, -v16
	v_fmac_f32_e32 v58, v62, v26
	v_mul_f32_e32 v16, v62, v27
	v_sub_f32_e32 v23, v38, v55
	v_mov_b32_e32 v24, v34
	v_add_f32_e32 v25, v38, v55
	v_fma_f32 v59, v63, v26, -v16
	v_mul_f32_e32 v62, v61, v29
	v_mul_f32_e32 v16, v60, v29
	v_fmac_f32_e32 v24, 0xbf5db3d7, v23
	v_fmac_f32_e32 v34, 0x3f5db3d7, v23
	v_add_f32_e32 v23, v35, v38
	v_fmac_f32_e32 v35, -0.5, v25
	v_add_f32_e32 v27, v56, v58
	v_fmac_f32_e32 v62, v60, v28
	v_fma_f32 v60, v61, v28, -v16
	v_mul_f32_e32 v61, v65, v31
	v_mul_f32_e32 v16, v64, v31
	v_sub_f32_e32 v26, v54, v39
	v_mov_b32_e32 v25, v35
	v_fma_f32 v28, -0.5, v27, v12
	v_fmac_f32_e32 v61, v64, v30
	v_fma_f32 v63, v65, v30, -v16
	v_fmac_f32_e32 v25, 0x3f5db3d7, v26
	v_fmac_f32_e32 v35, 0xbf5db3d7, v26
	v_add_f32_e32 v26, v12, v56
	v_sub_f32_e32 v12, v57, v59
	v_mov_b32_e32 v30, v28
	v_fmac_f32_e32 v30, 0xbf5db3d7, v12
	v_fmac_f32_e32 v28, 0x3f5db3d7, v12
	v_add_f32_e32 v12, v13, v57
	v_add_f32_e32 v27, v12, v59
	v_add_f32_e32 v12, v57, v59
	v_fma_f32 v29, -0.5, v12, v13
	v_sub_f32_e32 v12, v56, v58
	v_mov_b32_e32 v31, v29
	v_fmac_f32_e32 v31, 0x3f5db3d7, v12
	v_fmac_f32_e32 v29, 0xbf5db3d7, v12
	v_add_f32_e32 v12, v14, v62
	v_add_f32_e32 v16, v32, v53
	;; [unrolled: 1-line block ×4, first 2 shown]
	v_fma_f32 v14, -0.5, v12, v14
	v_sub_f32_e32 v13, v60, v63
	v_mov_b32_e32 v12, v14
	v_fmac_f32_e32 v12, 0xbf5db3d7, v13
	v_fmac_f32_e32 v14, 0x3f5db3d7, v13
	v_add_f32_e32 v13, v15, v60
	v_add_f32_e32 v33, v13, v63
	;; [unrolled: 1-line block ×3, first 2 shown]
	v_fmac_f32_e32 v15, -0.5, v13
	v_sub_f32_e32 v36, v62, v61
	v_mov_b32_e32 v13, v15
	v_add_f32_e32 v16, v16, v37
	v_fmac_f32_e32 v13, 0x3f5db3d7, v36
	v_fmac_f32_e32 v15, 0xbf5db3d7, v36
	v_mul_u32_u24_e32 v36, 0x660, v41
	v_lshlrev_b32_sdwa v37, v66, v42 dst_sel:DWORD dst_unused:UNUSED_PAD src0_sel:DWORD src1_sel:BYTE_0
	v_add3_u32 v36, 0, v36, v37
	ds_write2_b64 v36, v[16:17], v[20:21] offset1:68
	ds_write_b64 v36, v[18:19] offset:1088
	v_mul_u32_u24_e32 v16, 0x660, v43
	v_lshlrev_b32_e32 v17, 3, v50
	v_add_f32_e32 v22, v22, v39
	v_add_f32_e32 v23, v23, v55
	v_add3_u32 v16, 0, v16, v17
	ds_write2_b64 v16, v[22:23], v[24:25] offset1:68
	ds_write_b64 v16, v[34:35] offset:1088
	v_mul_u32_u24_e32 v16, 0x660, v51
	v_add_f32_e32 v26, v26, v58
	v_add3_u32 v3, 0, v16, v3
	ds_write2_b64 v3, v[26:27], v[30:31] offset1:68
	ds_write_b64 v3, v[28:29] offset:1088
	v_mul_u32_u24_e32 v3, 0x660, v67
	v_lshlrev_b32_e32 v16, 3, v68
	v_add3_u32 v3, 0, v3, v16
	v_add_u32_e32 v43, 0x1800, v52
	v_add_u32_e32 v42, 0x2600, v52
	;; [unrolled: 1-line block ×3, first 2 shown]
	ds_write2_b64 v3, v[32:33], v[12:13] offset1:68
	ds_write_b64 v3, v[14:15] offset:1088
	s_waitcnt lgkmcnt(0)
	s_barrier
	ds_read2_b64 v[20:23], v52 offset1:204
	ds_read2_b64 v[24:27], v47 offset0:24 offset1:228
	ds_read2_b64 v[28:31], v43 offset0:48 offset1:252
	;; [unrolled: 1-line block ×4, first 2 shown]
                                        ; implicit-def: $vgpr19
	s_and_saveexec_b64 s[4:5], vcc
	s_cbranch_execz .LBB0_17
; %bb.16:
	v_add_u32_e32 v0, 0x400, v52
	ds_read2_b64 v[12:15], v0 offset0:42 offset1:246
	v_add_u32_e32 v0, 0x1200, v52
	ds_read2_b64 v[8:11], v0 offset0:2 offset1:206
	ds_read2_b64 v[4:7], v2 offset0:26 offset1:230
	v_add_u32_e32 v0, 0x2a00, v52
	v_add_u32_e32 v16, 0x3800, v52
	ds_read2_b64 v[0:3], v0 offset0:50 offset1:254
	ds_read2_b64 v[16:19], v16 offset0:10 offset1:214
.LBB0_17:
	s_or_b64 exec, exec, s[4:5]
	v_mul_u32_u24_e32 v47, 9, v46
	v_lshlrev_b32_e32 v47, 3, v47
	global_load_dwordx4 v[53:56], v47, s[12:13] offset:1496
	global_load_dwordx4 v[57:60], v47, s[12:13] offset:1512
	;; [unrolled: 1-line block ×4, first 2 shown]
	global_load_dwordx2 v[50:51], v47, s[12:13] offset:1560
	s_waitcnt vmcnt(0) lgkmcnt(0)
	s_barrier
	v_mul_f32_e32 v69, v56, v25
	v_mul_f32_e32 v71, v60, v29
	;; [unrolled: 1-line block ×13, first 2 shown]
	v_fmac_f32_e32 v69, v55, v24
	v_fmac_f32_e32 v71, v59, v28
	;; [unrolled: 1-line block ×4, first 2 shown]
	v_mul_f32_e32 v68, v68, v36
	v_mul_f32_e32 v76, v39, v51
	;; [unrolled: 1-line block ×3, first 2 shown]
	v_fmac_f32_e32 v47, v53, v22
	v_fma_f32 v53, v53, v23, -v54
	v_fma_f32 v22, v55, v25, -v56
	v_fmac_f32_e32 v70, v57, v26
	v_fma_f32 v23, v57, v27, -v58
	v_fma_f32 v24, v59, v29, -v60
	;; [unrolled: 1-line block ×3, first 2 shown]
	v_fmac_f32_e32 v74, v65, v34
	v_fma_f32 v27, v65, v35, -v66
	v_sub_f32_e32 v34, v69, v71
	v_sub_f32_e32 v35, v75, v73
	v_add_f32_e32 v36, v69, v75
	v_mul_f32_e32 v72, v62, v31
	v_mul_f32_e32 v62, v62, v30
	v_fma_f32 v28, v67, v37, -v68
	v_fmac_f32_e32 v76, v38, v50
	v_fma_f32 v29, v39, v50, -v51
	v_add_f32_e32 v39, v21, v22
	v_add_f32_e32 v50, v24, v26
	;; [unrolled: 1-line block ×3, first 2 shown]
	v_fma_f32 v35, -0.5, v36, v20
	v_fma_f32 v25, v61, v31, -v62
	v_add_f32_e32 v31, v71, v73
	v_sub_f32_e32 v33, v24, v26
	v_sub_f32_e32 v37, v71, v69
	;; [unrolled: 1-line block ×5, first 2 shown]
	v_add_f32_e32 v36, v39, v24
	v_fma_f32 v39, -0.5, v50, v21
	v_mov_b32_e32 v50, v35
	v_fmac_f32_e32 v72, v61, v30
	v_add_f32_e32 v30, v20, v69
	v_sub_f32_e32 v32, v22, v28
	v_sub_f32_e32 v51, v69, v75
	v_fma_f32 v31, -0.5, v31, v20
	v_add_f32_e32 v20, v37, v38
	v_add_f32_e32 v37, v55, v56
	v_fmac_f32_e32 v35, 0xbf737871, v33
	v_mov_b32_e32 v55, v39
	v_fmac_f32_e32 v50, 0x3f737871, v33
	v_sub_f32_e32 v54, v71, v73
	v_fmac_f32_e32 v39, 0xbf737871, v51
	v_fmac_f32_e32 v35, 0x3f167918, v32
	;; [unrolled: 1-line block ×8, first 2 shown]
	v_add_f32_e32 v20, v22, v28
	v_fmac_f32_e32 v55, 0x3e9e377a, v37
	v_fmac_f32_e32 v39, 0x3e9e377a, v37
	v_fma_f32 v37, -0.5, v20, v21
	v_mov_b32_e32 v57, v37
	v_fmac_f32_e32 v57, 0xbf737871, v54
	v_sub_f32_e32 v20, v24, v22
	v_sub_f32_e32 v21, v26, v28
	v_fmac_f32_e32 v37, 0x3f737871, v54
	v_fmac_f32_e32 v57, 0x3f167918, v51
	v_add_f32_e32 v20, v20, v21
	v_fmac_f32_e32 v37, 0xbf167918, v51
	v_fmac_f32_e32 v57, 0x3e9e377a, v20
	v_fmac_f32_e32 v37, 0x3e9e377a, v20
	v_add_f32_e32 v20, v47, v70
	v_add_f32_e32 v20, v20, v72
	v_mov_b32_e32 v38, v31
	v_add_f32_e32 v20, v20, v74
	v_fmac_f32_e32 v31, 0x3f737871, v32
	v_fmac_f32_e32 v38, 0xbf737871, v32
	v_add_f32_e32 v32, v20, v76
	v_add_f32_e32 v20, v72, v74
	v_fmac_f32_e32 v31, 0x3f167918, v33
	v_fmac_f32_e32 v38, 0xbf167918, v33
	v_fma_f32 v33, -0.5, v20, v47
	v_fmac_f32_e32 v31, 0x3e9e377a, v34
	v_fmac_f32_e32 v38, 0x3e9e377a, v34
	v_sub_f32_e32 v20, v23, v29
	v_mov_b32_e32 v34, v33
	v_fmac_f32_e32 v34, 0xbf737871, v20
	v_sub_f32_e32 v21, v25, v27
	v_sub_f32_e32 v22, v70, v72
	;; [unrolled: 1-line block ×3, first 2 shown]
	v_fmac_f32_e32 v33, 0x3f737871, v20
	v_fmac_f32_e32 v34, 0xbf167918, v21
	v_add_f32_e32 v22, v22, v24
	v_fmac_f32_e32 v33, 0x3f167918, v21
	v_fmac_f32_e32 v34, 0x3e9e377a, v22
	;; [unrolled: 1-line block ×3, first 2 shown]
	v_add_f32_e32 v22, v70, v76
	v_add_f32_e32 v36, v36, v26
	v_fmac_f32_e32 v47, -0.5, v22
	v_add_f32_e32 v56, v36, v28
	v_mov_b32_e32 v36, v47
	v_fmac_f32_e32 v36, 0x3f737871, v21
	v_fmac_f32_e32 v47, 0xbf737871, v21
	;; [unrolled: 1-line block ×4, first 2 shown]
	v_add_f32_e32 v20, v53, v23
	v_add_f32_e32 v20, v20, v25
	;; [unrolled: 1-line block ×5, first 2 shown]
	v_sub_f32_e32 v22, v72, v70
	v_sub_f32_e32 v24, v74, v76
	v_fma_f32 v54, -0.5, v20, v53
	v_add_f32_e32 v22, v22, v24
	v_sub_f32_e32 v20, v70, v76
	v_mov_b32_e32 v58, v54
	v_fmac_f32_e32 v36, 0x3e9e377a, v22
	v_fmac_f32_e32 v47, 0x3e9e377a, v22
	;; [unrolled: 1-line block ×3, first 2 shown]
	v_sub_f32_e32 v21, v72, v74
	v_sub_f32_e32 v22, v23, v25
	v_sub_f32_e32 v24, v29, v27
	v_fmac_f32_e32 v54, 0xbf737871, v20
	v_fmac_f32_e32 v58, 0x3f167918, v21
	v_add_f32_e32 v22, v22, v24
	v_fmac_f32_e32 v54, 0xbf167918, v21
	v_fmac_f32_e32 v58, 0x3e9e377a, v22
	;; [unrolled: 1-line block ×3, first 2 shown]
	v_add_f32_e32 v22, v23, v29
	v_fmac_f32_e32 v53, -0.5, v22
	v_mov_b32_e32 v59, v53
	v_fmac_f32_e32 v59, 0xbf737871, v21
	v_sub_f32_e32 v22, v25, v23
	v_sub_f32_e32 v23, v27, v29
	v_fmac_f32_e32 v53, 0x3f737871, v21
	v_add_f32_e32 v30, v30, v71
	v_fmac_f32_e32 v59, 0x3f167918, v20
	v_add_f32_e32 v22, v22, v23
	;; [unrolled: 2-line block ×3, first 2 shown]
	v_fmac_f32_e32 v59, 0x3e9e377a, v22
	v_fmac_f32_e32 v53, 0x3e9e377a, v22
	v_mul_f32_e32 v60, 0xbf167918, v58
	v_mul_f32_e32 v58, 0x3f4f1bbd, v58
	v_add_f32_e32 v30, v30, v75
	v_fmac_f32_e32 v60, 0x3f4f1bbd, v34
	v_mul_f32_e32 v61, 0xbf737871, v59
	v_mul_f32_e32 v62, 0xbf737871, v53
	v_fmac_f32_e32 v58, 0x3f167918, v34
	v_mul_f32_e32 v59, 0x3e9e377a, v59
	v_mul_f32_e32 v53, 0xbe9e377a, v53
	v_add_f32_e32 v20, v30, v32
	v_add_f32_e32 v22, v38, v60
	v_fmac_f32_e32 v61, 0x3e9e377a, v36
	v_fmac_f32_e32 v62, 0xbe9e377a, v47
	v_mul_f32_e32 v63, 0xbf167918, v54
	v_add_f32_e32 v21, v56, v51
	v_add_f32_e32 v23, v55, v58
	v_fmac_f32_e32 v59, 0x3f737871, v36
	v_fmac_f32_e32 v53, 0x3f737871, v47
	v_mul_f32_e32 v47, 0xbf4f1bbd, v54
	v_add_f32_e32 v24, v50, v61
	v_add_f32_e32 v26, v35, v62
	v_fmac_f32_e32 v63, 0xbf4f1bbd, v33
	v_add_f32_e32 v25, v57, v59
	v_add_f32_e32 v27, v37, v53
	v_fmac_f32_e32 v47, 0x3f167918, v33
	ds_write2_b64 v52, v[20:21], v[22:23] offset1:204
	v_add_u32_e32 v20, 0xc00, v52
	v_add_f32_e32 v28, v31, v63
	v_add_f32_e32 v29, v39, v47
	v_sub_f32_e32 v30, v30, v32
	v_sub_f32_e32 v32, v38, v60
	;; [unrolled: 1-line block ×10, first 2 shown]
	ds_write2_b64 v20, v[24:25], v[26:27] offset0:24 offset1:228
	ds_write2_b64 v43, v[28:29], v[30:31] offset0:48 offset1:252
	;; [unrolled: 1-line block ×4, first 2 shown]
	s_and_saveexec_b64 s[4:5], vcc
	s_cbranch_execz .LBB0_19
; %bb.18:
	v_subrev_u32_e32 v20, 34, v46
	v_cndmask_b32_e32 v20, v20, v40, vcc
	v_mul_i32_i24_e32 v20, 9, v20
	v_mov_b32_e32 v21, 0
	v_lshlrev_b64 v[20:21], 3, v[20:21]
	v_mov_b32_e32 v22, s13
	v_add_co_u32_e32 v36, vcc, s12, v20
	v_addc_co_u32_e32 v37, vcc, v22, v21, vcc
	global_load_dwordx4 v[20:23], v[36:37], off offset:1496
	global_load_dwordx4 v[24:27], v[36:37], off offset:1512
	;; [unrolled: 1-line block ×4, first 2 shown]
	global_load_dwordx2 v[38:39], v[36:37], off offset:1560
	s_waitcnt vmcnt(4)
	v_mul_f32_e32 v36, v8, v23
	s_waitcnt vmcnt(3)
	v_mul_f32_e32 v37, v4, v27
	;; [unrolled: 2-line block ×4, first 2 shown]
	v_mul_f32_e32 v31, v17, v31
	v_mul_f32_e32 v42, v11, v25
	;; [unrolled: 1-line block ×3, first 2 shown]
	s_waitcnt vmcnt(0)
	v_mul_f32_e32 v47, v19, v39
	v_mul_f32_e32 v50, v3, v29
	;; [unrolled: 1-line block ×3, first 2 shown]
	v_fma_f32 v36, v9, v22, -v36
	v_fma_f32 v37, v5, v26, -v37
	;; [unrolled: 1-line block ×4, first 2 shown]
	v_mul_f32_e32 v35, v1, v35
	v_mul_f32_e32 v33, v6, v33
	v_fmac_f32_e32 v42, v10, v24
	v_fmac_f32_e32 v43, v6, v32
	;; [unrolled: 1-line block ×4, first 2 shown]
	v_fma_f32 v6, v3, v28, -v29
	v_sub_f32_e32 v1, v36, v37
	v_sub_f32_e32 v3, v17, v40
	v_mul_f32_e32 v27, v5, v27
	v_mul_f32_e32 v51, v15, v21
	;; [unrolled: 1-line block ×4, first 2 shown]
	v_sub_f32_e32 v28, v43, v42
	v_add_f32_e32 v29, v1, v3
	v_sub_f32_e32 v3, v50, v47
	v_mul_f32_e32 v23, v9, v23
	v_mul_f32_e32 v21, v14, v21
	v_fmac_f32_e32 v27, v4, v26
	v_fmac_f32_e32 v35, v0, v34
	;; [unrolled: 1-line block ×3, first 2 shown]
	v_fma_f32 v0, v11, v24, -v25
	v_fma_f32 v2, v19, v38, -v39
	;; [unrolled: 1-line block ×3, first 2 shown]
	v_add_f32_e32 v28, v28, v3
	v_add_f32_e32 v3, v42, v47
	v_fmac_f32_e32 v23, v8, v22
	v_fma_f32 v8, v15, v20, -v21
	v_sub_f32_e32 v10, v42, v43
	v_sub_f32_e32 v11, v47, v50
	v_add_f32_e32 v14, v43, v50
	v_sub_f32_e32 v18, v0, v4
	v_sub_f32_e32 v19, v2, v6
	v_add_f32_e32 v20, v4, v6
	v_fma_f32 v33, -0.5, v3, v51
	v_sub_f32_e32 v3, v4, v0
	v_sub_f32_e32 v38, v6, v2
	v_add_f32_e32 v5, v37, v40
	v_sub_f32_e32 v15, v0, v2
	v_sub_f32_e32 v24, v37, v36
	;; [unrolled: 1-line block ×3, first 2 shown]
	v_add_f32_e32 v10, v10, v11
	v_fma_f32 v11, -0.5, v14, v51
	v_add_f32_e32 v14, v18, v19
	v_fma_f32 v18, -0.5, v20, v8
	v_add_f32_e32 v38, v3, v38
	v_add_f32_e32 v3, v0, v2
	;; [unrolled: 1-line block ×3, first 2 shown]
	v_fmac_f32_e32 v31, v16, v30
	v_sub_f32_e32 v21, v42, v47
	v_fma_f32 v30, -0.5, v5, v13
	v_add_f32_e32 v5, v24, v25
	v_mov_b32_e32 v24, v11
	v_mov_b32_e32 v25, v18
	v_add_f32_e32 v0, v0, v4
	v_sub_f32_e32 v16, v4, v6
	v_sub_f32_e32 v22, v43, v50
	v_fmac_f32_e32 v24, 0x3f737871, v15
	v_fmac_f32_e32 v25, 0xbf737871, v21
	v_mov_b32_e32 v34, v33
	v_fmac_f32_e32 v11, 0xbf737871, v15
	v_add_f32_e32 v0, v0, v6
	v_fmac_f32_e32 v24, 0x3f167918, v16
	v_fmac_f32_e32 v25, 0xbf167918, v22
	;; [unrolled: 1-line block ×5, first 2 shown]
	v_add_f32_e32 v16, v0, v2
	v_sub_f32_e32 v0, v23, v27
	v_sub_f32_e32 v2, v31, v35
	v_sub_f32_e32 v7, v23, v31
	v_add_f32_e32 v26, v36, v17
	v_mov_b32_e32 v20, v30
	v_fmac_f32_e32 v25, 0x3e9e377a, v14
	v_fma_f32 v39, -0.5, v3, v8
	v_add_f32_e32 v6, v0, v2
	v_sub_f32_e32 v2, v27, v23
	v_sub_f32_e32 v4, v35, v31
	;; [unrolled: 1-line block ×3, first 2 shown]
	v_fma_f32 v19, -0.5, v26, v13
	v_fmac_f32_e32 v20, 0xbf737871, v7
	v_fmac_f32_e32 v24, 0x3e9e377a, v10
	v_mul_f32_e32 v32, 0xbf4f1bbd, v25
	v_mov_b32_e32 v41, v39
	v_fmac_f32_e32 v30, 0x3f737871, v7
	v_mul_f32_e32 v25, 0xbf167918, v25
	v_add_f32_e32 v4, v2, v4
	v_add_f32_e32 v2, v23, v31
	v_mov_b32_e32 v26, v19
	v_fmac_f32_e32 v20, 0xbf167918, v9
	v_fmac_f32_e32 v32, 0x3f167918, v24
	;; [unrolled: 1-line block ×5, first 2 shown]
	v_add_f32_e32 v0, v27, v35
	v_fmac_f32_e32 v25, 0xbf4f1bbd, v24
	v_fma_f32 v24, -0.5, v2, v12
	v_fmac_f32_e32 v26, 0x3f737871, v9
	v_fmac_f32_e32 v20, 0x3e9e377a, v29
	;; [unrolled: 1-line block ×7, first 2 shown]
	v_add_f32_e32 v9, v13, v36
	v_fma_f32 v21, -0.5, v0, v12
	v_sub_f32_e32 v13, v37, v40
	v_mov_b32_e32 v29, v24
	v_fmac_f32_e32 v18, 0x3f167918, v22
	v_sub_f32_e32 v8, v36, v17
	v_mov_b32_e32 v22, v21
	v_fmac_f32_e32 v29, 0xbf737871, v13
	v_fmac_f32_e32 v24, 0x3f737871, v13
	v_fmac_f32_e32 v22, 0x3f737871, v8
	v_fmac_f32_e32 v29, 0x3f167918, v8
	v_fmac_f32_e32 v24, 0xbf167918, v8
	v_fmac_f32_e32 v21, 0xbf737871, v8
	v_add_f32_e32 v8, v12, v23
	v_add_f32_e32 v8, v8, v27
	;; [unrolled: 1-line block ×5, first 2 shown]
	v_fmac_f32_e32 v34, 0x3f167918, v15
	v_fmac_f32_e32 v41, 0x3e9e377a, v38
	;; [unrolled: 1-line block ×5, first 2 shown]
	v_add_f32_e32 v9, v9, v37
	v_add_f32_e32 v8, v8, v43
	v_fmac_f32_e32 v34, 0x3e9e377a, v28
	v_mul_f32_e32 v53, 0xbe9e377a, v41
	v_fmac_f32_e32 v19, 0x3f167918, v7
	v_fmac_f32_e32 v33, 0x3e9e377a, v28
	v_mul_f32_e32 v28, 0x3e9e377a, v39
	v_fmac_f32_e32 v11, 0x3e9e377a, v10
	v_mul_f32_e32 v10, 0x3f4f1bbd, v18
	v_add_f32_e32 v9, v9, v40
	v_mul_f32_e32 v36, 0xbf737871, v41
	v_fmac_f32_e32 v21, 0xbf167918, v13
	v_mul_f32_e32 v18, 0xbf167918, v18
	v_add_f32_e32 v8, v8, v50
	v_fmac_f32_e32 v26, 0xbf167918, v7
	v_fmac_f32_e32 v53, 0x3f737871, v34
	v_fmac_f32_e32 v19, 0x3e9e377a, v5
	v_fmac_f32_e32 v28, 0x3f737871, v33
	v_fmac_f32_e32 v10, 0x3f167918, v11
	v_add_f32_e32 v14, v9, v17
	v_fmac_f32_e32 v22, 0x3f167918, v13
	v_fmac_f32_e32 v36, 0xbe9e377a, v34
	v_mul_f32_e32 v34, 0xbf737871, v39
	v_fmac_f32_e32 v21, 0x3e9e377a, v6
	v_fmac_f32_e32 v18, 0x3f4f1bbd, v11
	v_add_f32_e32 v27, v8, v47
	v_fmac_f32_e32 v26, 0x3e9e377a, v5
	v_sub_f32_e32 v1, v20, v32
	v_sub_f32_e32 v5, v19, v28
	;; [unrolled: 1-line block ×3, first 2 shown]
	v_fmac_f32_e32 v22, 0x3e9e377a, v6
	v_fmac_f32_e32 v29, 0x3e9e377a, v4
	;; [unrolled: 1-line block ×4, first 2 shown]
	v_sub_f32_e32 v6, v21, v18
	v_add_f32_e32 v11, v20, v32
	v_add_f32_e32 v15, v19, v28
	;; [unrolled: 1-line block ×6, first 2 shown]
	v_add_u32_e32 v20, 0x400, v52
	v_add_f32_e32 v13, v26, v53
	v_add_f32_e32 v12, v29, v36
	;; [unrolled: 1-line block ×3, first 2 shown]
	ds_write2_b64 v20, v[18:19], v[16:17] offset0:42 offset1:246
	v_add_u32_e32 v16, 0x1200, v52
	v_sub_f32_e32 v7, v30, v10
	v_sub_f32_e32 v8, v23, v27
	v_add_f32_e32 v10, v22, v25
	ds_write2_b64 v16, v[14:15], v[12:13] offset0:2 offset1:206
	v_add_u32_e32 v12, 0x1e00, v52
	v_sub_f32_e32 v4, v24, v34
	ds_write2_b64 v12, v[10:11], v[8:9] offset0:26 offset1:230
	v_add_u32_e32 v8, 0x2a00, v52
	v_sub_f32_e32 v3, v26, v53
	v_sub_f32_e32 v0, v22, v25
	;; [unrolled: 1-line block ×3, first 2 shown]
	ds_write2_b64 v8, v[6:7], v[4:5] offset0:50 offset1:254
	v_add_u32_e32 v4, 0x3800, v52
	ds_write2_b64 v4, v[2:3], v[0:1] offset0:10 offset1:214
.LBB0_19:
	s_or_b64 exec, exec, s[4:5]
	s_waitcnt lgkmcnt(0)
	s_barrier
	ds_read_b64 v[2:3], v52
	s_add_u32 s6, s12, 0x3f38
	v_lshlrev_b32_e32 v0, 3, v46
	s_addc_u32 s7, s13, 0
	v_sub_u32_e32 v6, 0, v0
	v_cmp_ne_u32_e32 vcc, 0, v46
                                        ; implicit-def: $vgpr0
                                        ; implicit-def: $vgpr7
                                        ; implicit-def: $vgpr8
                                        ; implicit-def: $vgpr4_vgpr5
	s_and_saveexec_b64 s[4:5], vcc
	s_xor_b64 s[4:5], exec, s[4:5]
	s_cbranch_execz .LBB0_21
; %bb.20:
	v_mov_b32_e32 v47, 0
	v_lshlrev_b64 v[0:1], 3, v[46:47]
	v_mov_b32_e32 v4, s7
	v_add_co_u32_e32 v0, vcc, s6, v0
	v_addc_co_u32_e32 v1, vcc, v4, v1, vcc
	global_load_dwordx2 v[0:1], v[0:1], off
	ds_read_b64 v[4:5], v6 offset:16320
	s_waitcnt lgkmcnt(0)
	v_add_f32_e32 v9, v4, v2
	v_sub_f32_e32 v2, v2, v4
	v_add_f32_e32 v7, v5, v3
	v_sub_f32_e32 v3, v3, v5
	v_mul_f32_e32 v2, 0.5, v2
	v_mul_f32_e32 v4, 0.5, v7
	;; [unrolled: 1-line block ×3, first 2 shown]
	s_waitcnt vmcnt(0)
	v_mul_f32_e32 v5, v1, v2
	v_fma_f32 v8, v4, v1, v3
	v_fma_f32 v1, v4, v1, -v3
	v_fma_f32 v7, 0.5, v9, v5
	v_fma_f32 v3, v9, 0.5, -v5
	v_fma_f32 v8, -v0, v2, v8
	v_fma_f32 v1, -v0, v2, v1
	v_fmac_f32_e32 v7, v0, v4
	v_fma_f32 v0, -v0, v4, v3
	v_mov_b32_e32 v4, v46
	v_mov_b32_e32 v5, v47
                                        ; implicit-def: $vgpr2_vgpr3
.LBB0_21:
	s_andn2_saveexec_b64 s[4:5], s[4:5]
	s_cbranch_execz .LBB0_23
; %bb.22:
	v_mov_b32_e32 v8, 0
	ds_read_b32 v1, v8 offset:8164
	v_mov_b32_e32 v4, 0
	s_waitcnt lgkmcnt(1)
	v_add_f32_e32 v7, v2, v3
	v_sub_f32_e32 v0, v2, v3
	v_mov_b32_e32 v5, 0
	s_waitcnt lgkmcnt(0)
	v_xor_b32_e32 v1, 0x80000000, v1
	ds_write_b32 v8, v1 offset:8164
	v_mov_b32_e32 v1, 0
.LBB0_23:
	s_or_b64 exec, exec, s[4:5]
	s_waitcnt lgkmcnt(0)
	v_lshlrev_b64 v[2:3], 3, v[4:5]
	v_mov_b32_e32 v4, s7
	v_add_co_u32_e32 v2, vcc, s6, v2
	v_addc_co_u32_e32 v3, vcc, v4, v3, vcc
	global_load_dwordx2 v[4:5], v[2:3], off offset:1360
	global_load_dwordx2 v[9:10], v[2:3], off offset:2720
	;; [unrolled: 1-line block ×3, first 2 shown]
	s_movk_i32 s4, 0x1000
	v_add_co_u32_e32 v2, vcc, s4, v2
	ds_write2_b32 v52, v7, v8 offset1:1
	ds_write_b64 v6, v[0:1] offset:16320
	v_addc_co_u32_e32 v3, vcc, 0, v3, vcc
	ds_read_b64 v[0:1], v52 offset:1360
	ds_read_b64 v[7:8], v6 offset:14960
	global_load_dwordx2 v[13:14], v[2:3], off offset:1344
	v_add_u32_e32 v15, 0x400, v52
	s_waitcnt lgkmcnt(0)
	v_add_f32_e32 v16, v0, v7
	v_sub_f32_e32 v0, v0, v7
	v_add_f32_e32 v17, v1, v8
	v_sub_f32_e32 v1, v1, v8
	v_mul_f32_e32 v0, 0.5, v0
	v_mul_f32_e32 v7, 0.5, v17
	;; [unrolled: 1-line block ×3, first 2 shown]
	s_waitcnt vmcnt(3)
	v_mul_f32_e32 v8, v5, v0
	v_fma_f32 v17, v7, v5, v1
	v_fma_f32 v1, v7, v5, -v1
	v_fma_f32 v5, 0.5, v16, v8
	v_fma_f32 v17, -v4, v0, v17
	v_fma_f32 v8, v16, 0.5, -v8
	v_fmac_f32_e32 v5, v4, v7
	v_fma_f32 v1, -v4, v0, v1
	v_fma_f32 v0, -v4, v7, v8
	ds_write2_b32 v15, v5, v17 offset0:84 offset1:85
	ds_write_b64 v6, v[0:1] offset:14960
	ds_read_b64 v[0:1], v52 offset:2720
	ds_read_b64 v[4:5], v6 offset:13600
	global_load_dwordx2 v[2:3], v[2:3], off offset:2704
	v_add_u32_e32 v7, 0x800, v52
	s_waitcnt lgkmcnt(0)
	v_add_f32_e32 v8, v0, v4
	v_sub_f32_e32 v0, v0, v4
	v_add_f32_e32 v15, v1, v5
	v_sub_f32_e32 v1, v1, v5
	v_mul_f32_e32 v0, 0.5, v0
	v_mul_f32_e32 v4, 0.5, v15
	v_mul_f32_e32 v1, 0.5, v1
	s_waitcnt vmcnt(3)
	v_mul_f32_e32 v5, v10, v0
	v_fma_f32 v15, v4, v10, v1
	v_fma_f32 v1, v4, v10, -v1
	v_fma_f32 v10, 0.5, v8, v5
	v_fma_f32 v15, -v9, v0, v15
	v_fma_f32 v5, v8, 0.5, -v5
	v_fmac_f32_e32 v10, v9, v4
	v_fma_f32 v1, -v9, v0, v1
	v_fma_f32 v0, -v9, v4, v5
	ds_write2_b32 v7, v10, v15 offset0:168 offset1:169
	ds_write_b64 v6, v[0:1] offset:13600
	ds_read_b64 v[0:1], v52 offset:4080
	ds_read_b64 v[4:5], v6 offset:12240
	v_add_u32_e32 v7, 0xc00, v52
	s_waitcnt lgkmcnt(0)
	v_add_f32_e32 v8, v0, v4
	v_sub_f32_e32 v0, v0, v4
	v_add_f32_e32 v9, v1, v5
	v_sub_f32_e32 v1, v1, v5
	v_mul_f32_e32 v0, 0.5, v0
	v_mul_f32_e32 v4, 0.5, v9
	;; [unrolled: 1-line block ×3, first 2 shown]
	s_waitcnt vmcnt(2)
	v_mul_f32_e32 v5, v12, v0
	v_fma_f32 v9, v4, v12, v1
	v_fma_f32 v10, 0.5, v8, v5
	v_fma_f32 v1, v4, v12, -v1
	v_fma_f32 v9, -v11, v0, v9
	v_fma_f32 v5, v8, 0.5, -v5
	v_fmac_f32_e32 v10, v11, v4
	v_fma_f32 v1, -v11, v0, v1
	v_fma_f32 v0, -v11, v4, v5
	ds_write2_b32 v7, v10, v9 offset0:252 offset1:253
	ds_write_b64 v6, v[0:1] offset:12240
	ds_read_b64 v[0:1], v52 offset:5440
	ds_read_b64 v[4:5], v6 offset:10880
	v_add_u32_e32 v7, 0x1400, v52
	s_waitcnt lgkmcnt(0)
	v_add_f32_e32 v8, v0, v4
	v_sub_f32_e32 v0, v0, v4
	v_add_f32_e32 v9, v1, v5
	v_sub_f32_e32 v1, v1, v5
	v_mul_f32_e32 v0, 0.5, v0
	v_mul_f32_e32 v4, 0.5, v9
	;; [unrolled: 1-line block ×3, first 2 shown]
	s_waitcnt vmcnt(1)
	v_mul_f32_e32 v5, v14, v0
	v_fma_f32 v9, v4, v14, v1
	v_fma_f32 v10, 0.5, v8, v5
	v_fma_f32 v1, v4, v14, -v1
	v_fma_f32 v9, -v13, v0, v9
	v_fma_f32 v5, v8, 0.5, -v5
	v_fmac_f32_e32 v10, v13, v4
	v_fma_f32 v1, -v13, v0, v1
	v_fma_f32 v0, -v13, v4, v5
	ds_write2_b32 v7, v10, v9 offset0:80 offset1:81
	ds_write_b64 v6, v[0:1] offset:10880
	ds_read_b64 v[0:1], v52 offset:6800
	ds_read_b64 v[4:5], v6 offset:9520
	v_add_u32_e32 v7, 0x1800, v52
	s_waitcnt lgkmcnt(0)
	v_add_f32_e32 v8, v0, v4
	v_sub_f32_e32 v0, v0, v4
	v_add_f32_e32 v9, v1, v5
	v_sub_f32_e32 v1, v1, v5
	v_mul_f32_e32 v0, 0.5, v0
	v_mul_f32_e32 v4, 0.5, v9
	;; [unrolled: 1-line block ×3, first 2 shown]
	s_waitcnt vmcnt(0)
	v_mul_f32_e32 v5, v3, v0
	v_fma_f32 v9, v4, v3, v1
	v_fma_f32 v1, v4, v3, -v1
	v_fma_f32 v3, 0.5, v8, v5
	v_fma_f32 v9, -v2, v0, v9
	v_fma_f32 v5, v8, 0.5, -v5
	v_fmac_f32_e32 v3, v2, v4
	v_fma_f32 v1, -v2, v0, v1
	v_fma_f32 v0, -v2, v4, v5
	ds_write2_b32 v7, v3, v9 offset0:164 offset1:165
	ds_write_b64 v6, v[0:1] offset:9520
	s_waitcnt lgkmcnt(0)
	s_barrier
	s_and_saveexec_b64 s[4:5], s[0:1]
	s_cbranch_execz .LBB0_26
; %bb.24:
	v_mul_lo_u32 v2, s3, v48
	v_mul_lo_u32 v3, s2, v49
	v_mad_u64_u32 v[0:1], s[0:1], s2, v48, 0
	v_mov_b32_e32 v6, s11
	v_lshl_add_u32 v8, v46, 3, 0
	v_add3_u32 v1, v1, v3, v2
	v_lshlrev_b64 v[0:1], 3, v[0:1]
	v_mov_b32_e32 v47, 0
	v_add_co_u32_e32 v0, vcc, s10, v0
	v_addc_co_u32_e32 v9, vcc, v6, v1, vcc
	v_lshlrev_b64 v[6:7], 3, v[44:45]
	ds_read2_b64 v[2:5], v8 offset1:170
	v_add_co_u32_e32 v1, vcc, v0, v6
	v_addc_co_u32_e32 v0, vcc, v9, v7, vcc
	v_lshlrev_b64 v[6:7], 3, v[46:47]
	s_movk_i32 s0, 0xa9
	v_add_co_u32_e32 v6, vcc, v1, v6
	v_addc_co_u32_e32 v7, vcc, v0, v7, vcc
	s_waitcnt lgkmcnt(0)
	global_store_dwordx2 v[6:7], v[2:3], off
	v_add_u32_e32 v2, 0xaa, v46
	v_mov_b32_e32 v3, v47
	v_lshlrev_b64 v[2:3], 3, v[2:3]
	v_add_u32_e32 v6, 0x154, v46
	v_add_co_u32_e32 v2, vcc, v1, v2
	v_addc_co_u32_e32 v3, vcc, v0, v3, vcc
	global_store_dwordx2 v[2:3], v[4:5], off
	v_add_u32_e32 v2, 0x800, v8
	v_mov_b32_e32 v7, v47
	ds_read2_b64 v[2:5], v2 offset0:84 offset1:254
	v_lshlrev_b64 v[6:7], 3, v[6:7]
	v_add_co_u32_e32 v6, vcc, v1, v6
	v_addc_co_u32_e32 v7, vcc, v0, v7, vcc
	s_waitcnt lgkmcnt(0)
	global_store_dwordx2 v[6:7], v[2:3], off
	v_add_u32_e32 v2, 0x1fe, v46
	v_mov_b32_e32 v3, v47
	v_lshlrev_b64 v[2:3], 3, v[2:3]
	v_add_u32_e32 v6, 0x2a8, v46
	v_add_co_u32_e32 v2, vcc, v1, v2
	v_addc_co_u32_e32 v3, vcc, v0, v3, vcc
	global_store_dwordx2 v[2:3], v[4:5], off
	v_add_u32_e32 v2, 0x1400, v8
	v_mov_b32_e32 v7, v47
	ds_read2_b64 v[2:5], v2 offset0:40 offset1:210
	v_lshlrev_b64 v[6:7], 3, v[6:7]
	;; [unrolled: 15-line block ×5, first 2 shown]
	v_add_co_u32_e32 v6, vcc, v1, v6
	v_addc_co_u32_e32 v7, vcc, v0, v7, vcc
	s_waitcnt lgkmcnt(0)
	global_store_dwordx2 v[6:7], v[2:3], off
	v_add_u32_e32 v2, 0x74e, v46
	v_mov_b32_e32 v3, v47
	v_lshlrev_b64 v[2:3], 3, v[2:3]
	v_add_co_u32_e32 v2, vcc, v1, v2
	v_addc_co_u32_e32 v3, vcc, v0, v3, vcc
	v_cmp_eq_u32_e32 vcc, s0, v46
	global_store_dwordx2 v[2:3], v[4:5], off
	s_and_b64 exec, exec, vcc
	s_cbranch_execz .LBB0_26
; %bb.25:
	ds_read_b64 v[2:3], v47 offset:16320
	v_add_co_u32_e32 v4, vcc, 0x3000, v1
	v_addc_co_u32_e32 v5, vcc, 0, v0, vcc
	s_waitcnt lgkmcnt(0)
	global_store_dwordx2 v[4:5], v[2:3], off offset:4032
.LBB0_26:
	s_endpgm
	.section	.rodata,"a",@progbits
	.p2align	6, 0x0
	.amdhsa_kernel fft_rtc_back_len2040_factors_17_4_3_10_wgs_170_tpt_170_halfLds_sp_op_CI_CI_unitstride_sbrr_R2C_dirReg
		.amdhsa_group_segment_fixed_size 0
		.amdhsa_private_segment_fixed_size 0
		.amdhsa_kernarg_size 104
		.amdhsa_user_sgpr_count 6
		.amdhsa_user_sgpr_private_segment_buffer 1
		.amdhsa_user_sgpr_dispatch_ptr 0
		.amdhsa_user_sgpr_queue_ptr 0
		.amdhsa_user_sgpr_kernarg_segment_ptr 1
		.amdhsa_user_sgpr_dispatch_id 0
		.amdhsa_user_sgpr_flat_scratch_init 0
		.amdhsa_user_sgpr_private_segment_size 0
		.amdhsa_uses_dynamic_stack 0
		.amdhsa_system_sgpr_private_segment_wavefront_offset 0
		.amdhsa_system_sgpr_workgroup_id_x 1
		.amdhsa_system_sgpr_workgroup_id_y 0
		.amdhsa_system_sgpr_workgroup_id_z 0
		.amdhsa_system_sgpr_workgroup_info 0
		.amdhsa_system_vgpr_workitem_id 0
		.amdhsa_next_free_vgpr 255
		.amdhsa_next_free_sgpr 28
		.amdhsa_reserve_vcc 1
		.amdhsa_reserve_flat_scratch 0
		.amdhsa_float_round_mode_32 0
		.amdhsa_float_round_mode_16_64 0
		.amdhsa_float_denorm_mode_32 3
		.amdhsa_float_denorm_mode_16_64 3
		.amdhsa_dx10_clamp 1
		.amdhsa_ieee_mode 1
		.amdhsa_fp16_overflow 0
		.amdhsa_exception_fp_ieee_invalid_op 0
		.amdhsa_exception_fp_denorm_src 0
		.amdhsa_exception_fp_ieee_div_zero 0
		.amdhsa_exception_fp_ieee_overflow 0
		.amdhsa_exception_fp_ieee_underflow 0
		.amdhsa_exception_fp_ieee_inexact 0
		.amdhsa_exception_int_div_zero 0
	.end_amdhsa_kernel
	.text
.Lfunc_end0:
	.size	fft_rtc_back_len2040_factors_17_4_3_10_wgs_170_tpt_170_halfLds_sp_op_CI_CI_unitstride_sbrr_R2C_dirReg, .Lfunc_end0-fft_rtc_back_len2040_factors_17_4_3_10_wgs_170_tpt_170_halfLds_sp_op_CI_CI_unitstride_sbrr_R2C_dirReg
                                        ; -- End function
	.section	.AMDGPU.csdata,"",@progbits
; Kernel info:
; codeLenInByte = 12912
; NumSgprs: 32
; NumVgprs: 255
; ScratchSize: 0
; MemoryBound: 0
; FloatMode: 240
; IeeeMode: 1
; LDSByteSize: 0 bytes/workgroup (compile time only)
; SGPRBlocks: 3
; VGPRBlocks: 63
; NumSGPRsForWavesPerEU: 32
; NumVGPRsForWavesPerEU: 255
; Occupancy: 1
; WaveLimiterHint : 1
; COMPUTE_PGM_RSRC2:SCRATCH_EN: 0
; COMPUTE_PGM_RSRC2:USER_SGPR: 6
; COMPUTE_PGM_RSRC2:TRAP_HANDLER: 0
; COMPUTE_PGM_RSRC2:TGID_X_EN: 1
; COMPUTE_PGM_RSRC2:TGID_Y_EN: 0
; COMPUTE_PGM_RSRC2:TGID_Z_EN: 0
; COMPUTE_PGM_RSRC2:TIDIG_COMP_CNT: 0
	.type	__hip_cuid_16d0071f270956a6,@object ; @__hip_cuid_16d0071f270956a6
	.section	.bss,"aw",@nobits
	.globl	__hip_cuid_16d0071f270956a6
__hip_cuid_16d0071f270956a6:
	.byte	0                               ; 0x0
	.size	__hip_cuid_16d0071f270956a6, 1

	.ident	"AMD clang version 19.0.0git (https://github.com/RadeonOpenCompute/llvm-project roc-6.4.0 25133 c7fe45cf4b819c5991fe208aaa96edf142730f1d)"
	.section	".note.GNU-stack","",@progbits
	.addrsig
	.addrsig_sym __hip_cuid_16d0071f270956a6
	.amdgpu_metadata
---
amdhsa.kernels:
  - .args:
      - .actual_access:  read_only
        .address_space:  global
        .offset:         0
        .size:           8
        .value_kind:     global_buffer
      - .offset:         8
        .size:           8
        .value_kind:     by_value
      - .actual_access:  read_only
        .address_space:  global
        .offset:         16
        .size:           8
        .value_kind:     global_buffer
      - .actual_access:  read_only
        .address_space:  global
        .offset:         24
        .size:           8
        .value_kind:     global_buffer
      - .actual_access:  read_only
        .address_space:  global
        .offset:         32
        .size:           8
        .value_kind:     global_buffer
      - .offset:         40
        .size:           8
        .value_kind:     by_value
      - .actual_access:  read_only
        .address_space:  global
        .offset:         48
        .size:           8
        .value_kind:     global_buffer
      - .actual_access:  read_only
        .address_space:  global
        .offset:         56
        .size:           8
        .value_kind:     global_buffer
      - .offset:         64
        .size:           4
        .value_kind:     by_value
      - .actual_access:  read_only
        .address_space:  global
        .offset:         72
        .size:           8
        .value_kind:     global_buffer
      - .actual_access:  read_only
        .address_space:  global
        .offset:         80
        .size:           8
        .value_kind:     global_buffer
      - .actual_access:  read_only
        .address_space:  global
        .offset:         88
        .size:           8
        .value_kind:     global_buffer
      - .actual_access:  write_only
        .address_space:  global
        .offset:         96
        .size:           8
        .value_kind:     global_buffer
    .group_segment_fixed_size: 0
    .kernarg_segment_align: 8
    .kernarg_segment_size: 104
    .language:       OpenCL C
    .language_version:
      - 2
      - 0
    .max_flat_workgroup_size: 170
    .name:           fft_rtc_back_len2040_factors_17_4_3_10_wgs_170_tpt_170_halfLds_sp_op_CI_CI_unitstride_sbrr_R2C_dirReg
    .private_segment_fixed_size: 0
    .sgpr_count:     32
    .sgpr_spill_count: 0
    .symbol:         fft_rtc_back_len2040_factors_17_4_3_10_wgs_170_tpt_170_halfLds_sp_op_CI_CI_unitstride_sbrr_R2C_dirReg.kd
    .uniform_work_group_size: 1
    .uses_dynamic_stack: false
    .vgpr_count:     255
    .vgpr_spill_count: 0
    .wavefront_size: 64
amdhsa.target:   amdgcn-amd-amdhsa--gfx906
amdhsa.version:
  - 1
  - 2
...

	.end_amdgpu_metadata
